;; amdgpu-corpus repo=triton-lang/triton kind=triton arch=gfx950 opt=O3 lang=triton
	.amdgcn_target "amdgcn-amd-amdhsa--gfx950"
	.amdhsa_code_object_version 5
	.text
	.globl	matmul_kernel_persistent        ; -- Begin function matmul_kernel_persistent
	.p2align	8
	.type	matmul_kernel_persistent,@function
matmul_kernel_persistent:               ; @matmul_kernel_persistent
.Lfunc_begin0:
	.cfi_sections .debug_frame
	.cfi_startproc
; %bb.495:
	.file	1 "/root/src/amdgpu-assembly/repos/triton-lang__triton-aot" "persistent_matmul.py"
	.loc	1 19 0 prologue_end             ; persistent_matmul.py:19:0
	s_load_dwordx2 s[2:3], s[0:1], 0x0
	s_load_dwordx8 s[4:11], s[0:1], 0x8
	s_load_dwordx4 s[12:15], s[0:1], 0x28
	s_waitcnt lgkmcnt(0)
	s_branch .LBB0_0
	.loc	1 0 0 is_stmt 0                 ; :0:0
.Ltmp0:
	.p2align	8
; %bb.496:
.LBB0_0:
	s_load_dword s17, s[0:1], 0x38
.Ltmp1:
	.file	2 "/root/.local/lib/python3.13/site-packages/triton/language" "standard.py"
	.loc	2 43 17 is_stmt 1               ; standard.py:43:17 @[ persistent_matmul.py:31:27 ]
	s_add_i32 s0, s8, 0x7f
	.loc	2 43 30 is_stmt 0               ; standard.py:43:30 @[ persistent_matmul.py:31:27 ]
	s_ashr_i32 s1, s0, 31
	s_lshr_b32 s1, s1, 25
	s_add_i32 s0, s0, s1
	s_ashr_i32 s33, s0, 7
.Ltmp2:
	.loc	2 43 17                         ; standard.py:43:17 @[ persistent_matmul.py:32:27 ]
	s_add_i32 s0, s9, 0x7f
	.loc	2 43 30                         ; standard.py:43:30 @[ persistent_matmul.py:32:27 ]
	s_ashr_i32 s1, s0, 31
	s_lshr_b32 s1, s1, 25
.Ltmp3:
	.loc	1 61 24 is_stmt 1               ; persistent_matmul.py:61:24
	v_readfirstlane_b32 s20, v0
.Ltmp4:
	.loc	2 43 30                         ; standard.py:43:30 @[ persistent_matmul.py:32:27 ]
	s_add_i32 s0, s0, s1
	s_ashr_i32 s0, s0, 7
.Ltmp5:
	.loc	1 47 41                         ; persistent_matmul.py:47:41
	s_and_b32 s30, s20, 0x100
	.loc	1 34 28                         ; persistent_matmul.py:34:28
	s_mul_i32 s58, s0, s33
	.loc	1 41 38                         ; persistent_matmul.py:41:38
	s_lshl_b32 s59, s0, 3
	.loc	1 47 41                         ; persistent_matmul.py:47:41
	v_and_b32_e32 v84, 31, v0
	s_lshr_b32 s0, s30, 3
	s_and_b32 s22, s20, 0xc0
	v_and_b32_e32 v85, 32, v0
	v_or_b32_e32 v66, s0, v84
	s_lshr_b32 s0, s22, 1
	v_lshrrev_b32_e32 v1, 2, v85
	v_or_b32_e32 v68, s0, v1
	.loc	1 55 24                         ; persistent_matmul.py:55:24
	s_add_i32 s0, s10, 0x7e
                                        ; implicit-def: $vgpr150 : SGPR spill to VGPR lane
	.loc	1 47 41                         ; persistent_matmul.py:47:41
	v_or_b32_e32 v67, 64, v66
	v_or_b32_e32 v69, 1, v68
	;; [unrolled: 1-line block ×16, first 2 shown]
	.loc	1 55 24                         ; persistent_matmul.py:55:24
	s_cmpk_gt_u32 s0, 0x7e
	s_mov_b64 s[0:1], -1
	v_writelane_b32 v150, s14, 0
	s_cbranch_scc0 .LBB0_396
; %bb.1:
.Ltmp6:
	.loc	2 43 17                         ; standard.py:43:17 @[ persistent_matmul.py:33:25 ]
	s_add_i32 s0, s10, 63
	.loc	2 43 30 is_stmt 0               ; standard.py:43:30 @[ persistent_matmul.py:33:25 ]
	s_ashr_i32 s1, s0, 31
	s_lshr_b32 s1, s1, 26
	s_add_i32 s0, s0, s1
.Ltmp7:
	.loc	1 43 59                         ; persistent_matmul.py:43:59
	s_sub_i32 s18, s58, s16
.Ltmp8:
	.loc	2 43 30                         ; standard.py:43:30 @[ persistent_matmul.py:33:25 ]
	s_ashr_i32 s14, s0, 6
.Ltmp9:
	.loc	1 43 59                         ; persistent_matmul.py:43:59
	s_mul_hi_i32 s0, s18, 0x6bca1af3
	s_lshr_b32 s21, s0, 31
	s_ashr_i32 s23, s0, 7
	s_add_i32 s0, s23, s21
	.loc	1 47 41 is_stmt 1               ; persistent_matmul.py:47:41
	s_bfe_u32 s64, s20, 0x30006
	.loc	1 43 59                         ; persistent_matmul.py:43:59
	s_mulk_i32 s0, 0x130
	s_cmp_lg_u32 s18, s0
	s_cselect_b64 s[0:1], -1, 0
	s_cmp_gt_i32 s18, -1
	s_cselect_b64 s[18:19], -1, 0
	s_and_b64 s[0:1], s[18:19], s[0:1]
	s_addc_u32 s79, s23, s21
	s_max_i32 s84, s14, 1
	s_mul_i32 s79, s79, s84
	s_cmp_gt_i32 s79, 0
	s_cselect_b64 s[34:35], -1, 0
.Ltmp10:
	.loc	1 10 26                         ; persistent_matmul.py:10:26 @[ persistent_matmul.py:44:88 ]
	s_abs_i32 s60, s59
	v_cvt_f32_u32_e32 v1, s60
	s_sub_i32 s18, 0, s60
	s_ashr_i32 s1, s59, 31
	v_writelane_b32 v150, s1, 1
	v_rcp_iflag_f32_e32 v1, v1
	s_abs_i32 s14, s16
	s_ashr_i32 s0, s16, 31
	s_xor_b32 s1, s0, s1
	v_mul_f32_e32 v1, 0x4f7ffffe, v1
	v_cvt_u32_f32_e32 v1, v1
.Ltmp11:
	.loc	1 40 35                         ; persistent_matmul.py:40:35
	v_and_b32_e32 v86, 63, v0
	.loc	1 60 64                         ; persistent_matmul.py:60:64
	v_cmp_gt_i32_e32 vcc, s10, v86
	.loc	1 57 79                         ; persistent_matmul.py:57:79
	v_mul_lo_u32 v17, s12, v86
.Ltmp12:
	.loc	1 10 26                         ; persistent_matmul.py:10:26 @[ persistent_matmul.py:44:88 ]
	v_readfirstlane_b32 s19, v1
	s_mul_i32 s18, s18, s19
	s_mul_hi_u32 s18, s19, s18
	s_add_i32 s18, s19, s18
	v_writelane_b32 v150, s18, 2
	s_mul_hi_u32 s18, s14, s18
	s_mul_i32 s19, s18, s60
	s_sub_i32 s19, s14, s19
	s_add_i32 s21, s18, 1
	s_sub_i32 s23, s19, s60
	s_cmp_ge_u32 s19, s60
	s_cselect_b32 s18, s21, s18
	s_cselect_b32 s19, s23, s19
	s_add_i32 s21, s18, 1
	s_cmp_ge_u32 s19, s60
	s_cselect_b32 s18, s21, s18
	s_xor_b32 s18, s18, s1
	s_sub_i32 s25, s18, s1
	.loc	1 11 29                         ; persistent_matmul.py:11:29 @[ persistent_matmul.py:44:88 ]
	s_lshl_b32 s1, s25, 3
	.loc	1 12 35                         ; persistent_matmul.py:12:35 @[ persistent_matmul.py:44:88 ]
	s_sub_i32 s18, s33, s1
	.loc	1 12 48 is_stmt 0               ; persistent_matmul.py:12:48 @[ persistent_matmul.py:44:88 ]
	s_min_i32 s24, s18, 8
	.loc	1 13 37 is_stmt 1               ; persistent_matmul.py:13:37 @[ persistent_matmul.py:44:88 ]
	s_abs_i32 s21, s24
	v_cvt_f32_u32_e32 v1, s21
	s_sub_i32 s18, 0, s21
	v_mov_b32_e32 v2, 0
	v_rcp_iflag_f32_e32 v1, v1
	s_nop 0
	v_mul_f32_e32 v1, 0x4f7ffffe, v1
	v_cvt_u32_f32_e32 v1, v1
	s_nop 0
	v_readfirstlane_b32 s23, v1
	s_mul_i32 s18, s18, s23
	s_mul_hi_u32 s18, s23, s18
	s_add_i32 s23, s23, s18
	s_mul_hi_u32 s18, s14, s23
	s_mul_i32 s18, s18, s21
	s_sub_i32 s14, s14, s18
	s_sub_i32 s18, s14, s21
	s_cmp_ge_u32 s14, s21
	s_cselect_b32 s14, s18, s14
	s_sub_i32 s18, s14, s21
	s_cmp_ge_u32 s14, s21
	s_cselect_b32 s14, s18, s14
	s_xor_b32 s14, s14, s0
	s_sub_i32 s0, s14, s0
	.loc	1 13 27 is_stmt 0               ; persistent_matmul.py:13:27 @[ persistent_matmul.py:44:88 ]
	s_add_i32 s1, s1, s0
.Ltmp13:
	.loc	1 45 26 is_stmt 1               ; persistent_matmul.py:45:26
	s_lshl_b32 s56, s1, 7
	.loc	1 47 28                         ; persistent_matmul.py:47:28
	s_or_b32 s0, s56, s64
	.loc	1 49 37                         ; persistent_matmul.py:49:37
	s_cmp_lt_i32 s0, s8
	.loc	1 49 49 is_stmt 0               ; persistent_matmul.py:49:49
	s_cselect_b32 s0, s0, 0
	.loc	1 57 49 is_stmt 1               ; persistent_matmul.py:57:49
	s_mul_i32 s61, s0, s11
	.loc	1 43 59                         ; persistent_matmul.py:43:59
	s_and_b64 s[0:1], vcc, s[34:35]
	v_mov_b32_e32 v1, 0
	.loc	1 60 24                         ; persistent_matmul.py:60:24
	s_and_saveexec_b64 s[18:19], s[0:1]
	s_cbranch_execz .LBB0_3
; %bb.2:
	.loc	1 0 24 is_stmt 0                ; persistent_matmul.py:0:24
	v_add_u32_e32 v2, s61, v17
	v_ashrrev_i32_e32 v3, 31, v2
	v_lshl_add_u64 v[2:3], v[2:3], 1, s[2:3]
	.loc	1 60 24                         ; persistent_matmul.py:60:24
	global_load_ushort v2, v[2:3], off
.LBB0_3:
	.loc	1 0 24                          ; persistent_matmul.py:0:24
	s_or_b64 exec, exec, s[18:19]
	.loc	1 47 41 is_stmt 1               ; persistent_matmul.py:47:41
	s_or_b32 s14, s64, 8
	v_writelane_b32 v150, s14, 3
	.loc	1 47 28 is_stmt 0               ; persistent_matmul.py:47:28
	s_or_b32 s14, s56, s14
	.loc	1 49 37 is_stmt 1               ; persistent_matmul.py:49:37
	s_cmp_lt_i32 s14, s8
	.loc	1 49 49 is_stmt 0               ; persistent_matmul.py:49:49
	s_cselect_b32 s14, s14, 0
	.loc	1 57 49 is_stmt 1               ; persistent_matmul.py:57:49
	s_mul_i32 s78, s14, s11
	.loc	1 60 24                         ; persistent_matmul.py:60:24
	s_and_saveexec_b64 s[18:19], s[0:1]
	s_cbranch_execz .LBB0_5
; %bb.4:
	.loc	1 57 61                         ; persistent_matmul.py:57:61
	v_add_u32_e32 v4, s78, v17
	.loc	1 57 30 is_stmt 0               ; persistent_matmul.py:57:30
	v_ashrrev_i32_e32 v5, 31, v4
	v_lshl_add_u64 v[4:5], v[4:5], 1, s[2:3]
	.loc	1 60 24 is_stmt 1               ; persistent_matmul.py:60:24
	global_load_ushort v1, v[4:5], off
.LBB0_5:
	.loc	1 0 24 is_stmt 0                ; persistent_matmul.py:0:24
	s_or_b64 exec, exec, s[18:19]
	.loc	1 47 41 is_stmt 1               ; persistent_matmul.py:47:41
	s_or_b32 s14, s64, 16
	v_writelane_b32 v150, s14, 4
	.loc	1 47 28 is_stmt 0               ; persistent_matmul.py:47:28
	s_or_b32 s14, s56, s14
	.loc	1 49 37 is_stmt 1               ; persistent_matmul.py:49:37
	s_cmp_lt_i32 s14, s8
	.loc	1 49 49 is_stmt 0               ; persistent_matmul.py:49:49
	s_cselect_b32 s14, s14, 0
	.loc	1 57 49 is_stmt 1               ; persistent_matmul.py:57:49
	s_mul_i32 s80, s14, s11
	v_mov_b32_e32 v3, 0
	v_mov_b32_e32 v4, 0
	.loc	1 60 24                         ; persistent_matmul.py:60:24
	s_and_saveexec_b64 s[18:19], s[0:1]
	s_cbranch_execz .LBB0_7
; %bb.6:
	.loc	1 57 61                         ; persistent_matmul.py:57:61
	v_add_u32_e32 v4, s80, v17
	.loc	1 57 30 is_stmt 0               ; persistent_matmul.py:57:30
	v_ashrrev_i32_e32 v5, 31, v4
	v_lshl_add_u64 v[4:5], v[4:5], 1, s[2:3]
	.loc	1 60 24 is_stmt 1               ; persistent_matmul.py:60:24
	global_load_ushort v4, v[4:5], off
.LBB0_7:
	.loc	1 0 24 is_stmt 0                ; persistent_matmul.py:0:24
	s_or_b64 exec, exec, s[18:19]
	.loc	1 47 41 is_stmt 1               ; persistent_matmul.py:47:41
	s_or_b32 s14, s64, 24
	v_writelane_b32 v150, s14, 5
	.loc	1 47 28 is_stmt 0               ; persistent_matmul.py:47:28
	s_or_b32 s14, s56, s14
	.loc	1 49 37 is_stmt 1               ; persistent_matmul.py:49:37
	s_cmp_lt_i32 s14, s8
	.loc	1 49 49 is_stmt 0               ; persistent_matmul.py:49:49
	s_cselect_b32 s14, s14, 0
	.loc	1 57 49 is_stmt 1               ; persistent_matmul.py:57:49
	s_mul_i32 s82, s14, s11
	.loc	1 60 24                         ; persistent_matmul.py:60:24
	s_and_saveexec_b64 s[18:19], s[0:1]
	s_cbranch_execz .LBB0_9
; %bb.8:
	.loc	1 57 61                         ; persistent_matmul.py:57:61
	v_add_u32_e32 v6, s82, v17
	.loc	1 57 30 is_stmt 0               ; persistent_matmul.py:57:30
	v_ashrrev_i32_e32 v7, 31, v6
	v_lshl_add_u64 v[6:7], v[6:7], 1, s[2:3]
	.loc	1 60 24 is_stmt 1               ; persistent_matmul.py:60:24
	global_load_ushort v3, v[6:7], off
.LBB0_9:
	.loc	1 0 24 is_stmt 0                ; persistent_matmul.py:0:24
	s_or_b64 exec, exec, s[18:19]
	.loc	1 47 41 is_stmt 1               ; persistent_matmul.py:47:41
	s_or_b32 s14, s64, 32
	v_writelane_b32 v150, s14, 6
	.loc	1 47 28 is_stmt 0               ; persistent_matmul.py:47:28
	s_or_b32 s14, s56, s14
	.loc	1 49 37 is_stmt 1               ; persistent_matmul.py:49:37
	s_cmp_lt_i32 s14, s8
	.loc	1 49 49 is_stmt 0               ; persistent_matmul.py:49:49
	s_cselect_b32 s14, s14, 0
	.loc	1 57 49 is_stmt 1               ; persistent_matmul.py:57:49
	s_mul_i32 s85, s14, s11
	v_mov_b32_e32 v5, 0
	v_mov_b32_e32 v6, 0
	.loc	1 60 24                         ; persistent_matmul.py:60:24
	s_and_saveexec_b64 s[18:19], s[0:1]
	s_cbranch_execz .LBB0_11
; %bb.10:
	.loc	1 57 61                         ; persistent_matmul.py:57:61
	v_add_u32_e32 v6, s85, v17
	.loc	1 57 30 is_stmt 0               ; persistent_matmul.py:57:30
	v_ashrrev_i32_e32 v7, 31, v6
	v_lshl_add_u64 v[6:7], v[6:7], 1, s[2:3]
	.loc	1 60 24 is_stmt 1               ; persistent_matmul.py:60:24
	global_load_ushort v6, v[6:7], off
.LBB0_11:
	.loc	1 0 24 is_stmt 0                ; persistent_matmul.py:0:24
	;; [unrolled: 52-line block ×5, first 2 shown]
	s_or_b64 exec, exec, s[18:19]
	.loc	1 47 41 is_stmt 1               ; persistent_matmul.py:47:41
	s_or_b32 s14, s64, 0x58
	v_writelane_b32 v150, s14, 13
	.loc	1 47 28 is_stmt 0               ; persistent_matmul.py:47:28
	s_or_b32 s14, s56, s14
	.loc	1 49 37 is_stmt 1               ; persistent_matmul.py:49:37
	s_cmp_lt_i32 s14, s8
	.loc	1 49 49 is_stmt 0               ; persistent_matmul.py:49:49
	s_cselect_b32 s14, s14, 0
	s_mul_i32 s25, s25, s59
	.loc	1 57 49 is_stmt 1               ; persistent_matmul.py:57:49
	s_mul_i32 s99, s14, s11
	.loc	1 60 24                         ; persistent_matmul.py:60:24
	s_and_saveexec_b64 s[18:19], s[0:1]
	s_cbranch_execz .LBB0_25
; %bb.24:
	.loc	1 57 61                         ; persistent_matmul.py:57:61
	v_add_u32_e32 v14, s99, v17
	.loc	1 57 30 is_stmt 0               ; persistent_matmul.py:57:30
	v_ashrrev_i32_e32 v15, 31, v14
	v_lshl_add_u64 v[14:15], v[14:15], 1, s[2:3]
	.loc	1 60 24 is_stmt 1               ; persistent_matmul.py:60:24
	global_load_ushort v11, v[14:15], off
.LBB0_25:
	.loc	1 0 24 is_stmt 0                ; persistent_matmul.py:0:24
	s_or_b64 exec, exec, s[18:19]
	.loc	1 47 41 is_stmt 1               ; persistent_matmul.py:47:41
	s_or_b32 s14, s64, 0x60
	s_sub_i32 s26, s16, s25
	v_writelane_b32 v150, s14, 14
	.loc	1 47 28 is_stmt 0               ; persistent_matmul.py:47:28
	s_or_b32 s14, s56, s14
	.loc	1 49 37 is_stmt 1               ; persistent_matmul.py:49:37
	s_cmp_lt_i32 s14, s8
	.loc	1 49 49 is_stmt 0               ; persistent_matmul.py:49:49
	s_cselect_b32 s14, s14, 0
	.loc	1 57 49 is_stmt 1               ; persistent_matmul.py:57:49
	s_mul_i32 s53, s14, s11
	v_mov_b32_e32 v13, 0
	v_mov_b32_e32 v14, 0
	.loc	1 60 24                         ; persistent_matmul.py:60:24
	s_and_saveexec_b64 s[18:19], s[0:1]
	s_cbranch_execz .LBB0_27
; %bb.26:
	.loc	1 57 61                         ; persistent_matmul.py:57:61
	v_add_u32_e32 v14, s53, v17
	.loc	1 57 30 is_stmt 0               ; persistent_matmul.py:57:30
	v_ashrrev_i32_e32 v15, 31, v14
	v_lshl_add_u64 v[14:15], v[14:15], 1, s[2:3]
	.loc	1 60 24 is_stmt 1               ; persistent_matmul.py:60:24
	global_load_ushort v14, v[14:15], off
.LBB0_27:
	.loc	1 0 24 is_stmt 0                ; persistent_matmul.py:0:24
	s_or_b64 exec, exec, s[18:19]
	.loc	1 47 41 is_stmt 1               ; persistent_matmul.py:47:41
	s_or_b32 s14, s64, 0x68
	s_abs_i32 s25, s26
	v_writelane_b32 v150, s14, 15
	.loc	1 47 28 is_stmt 0               ; persistent_matmul.py:47:28
	s_or_b32 s14, s56, s14
	.loc	1 49 37 is_stmt 1               ; persistent_matmul.py:49:37
	s_cmp_lt_i32 s14, s8
	.loc	1 49 49 is_stmt 0               ; persistent_matmul.py:49:49
	s_cselect_b32 s14, s14, 0
	.loc	1 57 49 is_stmt 1               ; persistent_matmul.py:57:49
	s_mul_i32 s66, s14, s11
	.loc	1 60 24                         ; persistent_matmul.py:60:24
	s_and_saveexec_b64 s[18:19], s[0:1]
	s_cbranch_execz .LBB0_29
; %bb.28:
	.loc	1 57 61                         ; persistent_matmul.py:57:61
	v_add_u32_e32 v18, s66, v17
	.loc	1 57 30 is_stmt 0               ; persistent_matmul.py:57:30
	v_ashrrev_i32_e32 v19, 31, v18
	v_lshl_add_u64 v[18:19], v[18:19], 1, s[2:3]
	.loc	1 60 24 is_stmt 1               ; persistent_matmul.py:60:24
	global_load_ushort v13, v[18:19], off
.LBB0_29:
	.loc	1 0 24 is_stmt 0                ; persistent_matmul.py:0:24
	s_or_b64 exec, exec, s[18:19]
	.loc	1 47 41 is_stmt 1               ; persistent_matmul.py:47:41
	s_or_b32 s14, s64, 0x70
	v_writelane_b32 v150, s14, 16
	.loc	1 47 28 is_stmt 0               ; persistent_matmul.py:47:28
	s_or_b32 s14, s56, s14
	.loc	1 49 37 is_stmt 1               ; persistent_matmul.py:49:37
	s_cmp_lt_i32 s14, s8
	.loc	1 49 49 is_stmt 0               ; persistent_matmul.py:49:49
	s_cselect_b32 s14, s14, 0
	s_mul_hi_u32 s27, s25, s23
	.loc	1 57 49 is_stmt 1               ; persistent_matmul.py:57:49
	s_mul_i32 s68, s14, s11
	v_mov_b32_e32 v15, 0
	v_mov_b32_e32 v16, 0
	.loc	1 60 24                         ; persistent_matmul.py:60:24
	s_and_saveexec_b64 s[18:19], s[0:1]
	s_cbranch_execz .LBB0_31
; %bb.30:
	.loc	1 57 61                         ; persistent_matmul.py:57:61
	v_add_u32_e32 v18, s68, v17
	.loc	1 57 30 is_stmt 0               ; persistent_matmul.py:57:30
	v_ashrrev_i32_e32 v19, 31, v18
	v_lshl_add_u64 v[18:19], v[18:19], 1, s[2:3]
	.loc	1 60 24 is_stmt 1               ; persistent_matmul.py:60:24
	global_load_ushort v16, v[18:19], off
.LBB0_31:
	.loc	1 0 24 is_stmt 0                ; persistent_matmul.py:0:24
	s_or_b64 exec, exec, s[18:19]
	.loc	1 47 41 is_stmt 1               ; persistent_matmul.py:47:41
	s_or_b32 s14, s64, 0x78
	s_and_b32 s23, s20, 0x1c0
	s_ashr_i32 s24, s24, 31
	s_ashr_i32 s26, s26, 31
	v_writelane_b32 v150, s14, 17
	.loc	1 47 28 is_stmt 0               ; persistent_matmul.py:47:28
	s_or_b32 s14, s56, s14
	.loc	1 49 37 is_stmt 1               ; persistent_matmul.py:49:37
	s_cmp_lt_i32 s14, s8
	.loc	1 49 49 is_stmt 0               ; persistent_matmul.py:49:49
	s_cselect_b32 s14, s14, 0
	.loc	1 57 49 is_stmt 1               ; persistent_matmul.py:57:49
	s_mul_i32 s70, s14, s11
	.loc	1 60 24                         ; persistent_matmul.py:60:24
	s_and_saveexec_b64 s[18:19], s[0:1]
	s_cbranch_execz .LBB0_33
; %bb.32:
	.loc	1 57 61                         ; persistent_matmul.py:57:61
	v_add_u32_e32 v18, s70, v17
	.loc	1 57 30 is_stmt 0               ; persistent_matmul.py:57:30
	v_ashrrev_i32_e32 v19, 31, v18
	v_lshl_add_u64 v[18:19], v[18:19], 1, s[2:3]
	.loc	1 60 24 is_stmt 1               ; persistent_matmul.py:60:24
	global_load_ushort v15, v[18:19], off
.LBB0_33:
	.loc	1 0 24 is_stmt 0                ; persistent_matmul.py:0:24
	s_or_b64 exec, exec, s[18:19]
.Ltmp14:
	.loc	1 14 44 is_stmt 1               ; persistent_matmul.py:14:44 @[ persistent_matmul.py:44:88 ]
	s_mul_i32 s1, s27, s21
	s_sub_i32 s1, s25, s1
	s_xor_b32 s0, s26, s24
	s_add_i32 s14, s27, 1
	s_sub_i32 s18, s1, s21
	s_cmp_ge_u32 s1, s21
	s_cselect_b32 s14, s14, s27
	s_cselect_b32 s1, s18, s1
	s_add_i32 s18, s14, 1
	s_cmp_ge_u32 s1, s21
	s_cselect_b32 s1, s18, s14
	s_xor_b32 s1, s1, s0
.Ltmp15:
	.loc	1 47 41                         ; persistent_matmul.py:47:41
	v_mov_b32_e32 v17, 0x7f
.Ltmp16:
	.loc	1 14 44                         ; persistent_matmul.py:14:44 @[ persistent_matmul.py:44:88 ]
	s_sub_i32 s0, s1, s0
.Ltmp17:
	.loc	1 47 41                         ; persistent_matmul.py:47:41
	v_bitop3_b32 v87, s23, v17, v86 bitop3:0xc8
	.loc	1 46 26                         ; persistent_matmul.py:46:26
	s_lshl_b32 s57, s0, 7
	.loc	1 48 28                         ; persistent_matmul.py:48:28
	v_or_b32_e32 v17, s57, v87
	.loc	1 50 37                         ; persistent_matmul.py:50:37
	v_cmp_gt_i32_e32 vcc, s9, v17
	.loc	1 40 35                         ; persistent_matmul.py:40:35
	s_bfe_u32 s86, s20, 0x20007
	.loc	1 58 79                         ; persistent_matmul.py:58:79
	v_readlane_b32 s0, v150, 0
	.loc	1 50 49                         ; persistent_matmul.py:50:49
	v_cndmask_b32_e32 v17, 0, v17, vcc
	.loc	1 61 64                         ; persistent_matmul.py:61:64
	s_cmp_ge_i32 s86, s10
	.loc	1 58 79                         ; persistent_matmul.py:58:79
	v_mul_lo_u32 v89, v17, s0
	.loc	1 61 64                         ; persistent_matmul.py:61:64
	s_cselect_b64 s[0:1], -1, 0
	v_writelane_b32 v150, s34, 18
	.loc	1 43 59                         ; persistent_matmul.py:43:59
	s_xor_b64 s[54:55], s[34:35], -1
	.loc	1 61 24                         ; persistent_matmul.py:61:24
	s_or_b64 s[0:1], s[54:55], s[0:1]
	s_and_b64 vcc, exec, s[0:1]
	v_writelane_b32 v150, s35, 19
	s_cbranch_vccnz .LBB0_35
; %bb.34:
	.loc	1 0 24 is_stmt 0                ; persistent_matmul.py:0:24
	s_mul_i32 s0, s86, s13
	v_add_u32_e32 v18, s0, v89
	v_ashrrev_i32_e32 v19, 31, v18
	v_lshl_add_u64 v[18:19], v[18:19], 1, s[4:5]
	.loc	1 61 24                         ; persistent_matmul.py:61:24
	global_load_ushort v17, v[18:19], off
	s_branch .LBB0_36
.LBB0_35:
	.loc	1 0 24                          ; persistent_matmul.py:0:24
	v_mov_b32_e32 v17, 0
.LBB0_36:
	.loc	1 40 35 is_stmt 1               ; persistent_matmul.py:40:35
	s_or_b32 s14, s86, 4
	.loc	1 61 64                         ; persistent_matmul.py:61:64
	s_cmp_ge_i32 s14, s10
	s_cselect_b64 s[0:1], -1, 0
	.loc	1 61 24 is_stmt 0               ; persistent_matmul.py:61:24
	s_or_b64 s[0:1], s[54:55], s[0:1]
	s_and_b64 vcc, exec, s[0:1]
	s_cbranch_vccnz .LBB0_38
; %bb.37:
	.loc	1 58 48 is_stmt 1               ; persistent_matmul.py:58:48
	s_mul_i32 s0, s14, s13
	.loc	1 58 60 is_stmt 0               ; persistent_matmul.py:58:60
	v_add_u32_e32 v18, s0, v89
	.loc	1 58 30                         ; persistent_matmul.py:58:30
	v_ashrrev_i32_e32 v19, 31, v18
	v_lshl_add_u64 v[18:19], v[18:19], 1, s[4:5]
	.loc	1 61 24 is_stmt 1               ; persistent_matmul.py:61:24
	global_load_ushort v18, v[18:19], off
	s_branch .LBB0_39
.LBB0_38:
	.loc	1 0 24 is_stmt 0                ; persistent_matmul.py:0:24
	v_mov_b32_e32 v18, 0
.LBB0_39:
	.loc	1 40 35 is_stmt 1               ; persistent_matmul.py:40:35
	s_or_b32 s90, s86, 8
	.loc	1 61 64                         ; persistent_matmul.py:61:64
	s_cmp_ge_i32 s90, s10
	s_cselect_b64 s[0:1], -1, 0
	.loc	1 61 24 is_stmt 0               ; persistent_matmul.py:61:24
	s_or_b64 s[0:1], s[54:55], s[0:1]
	s_and_b64 vcc, exec, s[0:1]
	s_cbranch_vccnz .LBB0_41
; %bb.40:
	.loc	1 58 48 is_stmt 1               ; persistent_matmul.py:58:48
	s_mul_i32 s0, s90, s13
	.loc	1 58 60 is_stmt 0               ; persistent_matmul.py:58:60
	v_add_u32_e32 v20, s0, v89
	.loc	1 58 30                         ; persistent_matmul.py:58:30
	v_ashrrev_i32_e32 v21, 31, v20
	v_lshl_add_u64 v[20:21], v[20:21], 1, s[4:5]
	.loc	1 61 24 is_stmt 1               ; persistent_matmul.py:61:24
	global_load_ushort v19, v[20:21], off
	s_branch .LBB0_42
.LBB0_41:
	.loc	1 0 24 is_stmt 0                ; persistent_matmul.py:0:24
	v_mov_b32_e32 v19, 0
.LBB0_42:
	;; [unrolled: 24-line block ×14, first 2 shown]
	s_and_b32 s0, s20, 0x180
	.loc	1 40 35 is_stmt 1               ; persistent_matmul.py:40:35
	s_or_b32 s74, s86, 60
	.loc	1 61 64                         ; persistent_matmul.py:61:64
	s_cmp_ge_i32 s74, s10
	s_cselect_b64 s[18:19], -1, 0
	.loc	1 61 24 is_stmt 0               ; persistent_matmul.py:61:24
	s_or_b64 s[18:19], s[54:55], s[18:19]
	v_or_b32_e32 v33, s23, v86
	s_and_b64 vcc, exec, s[18:19]
	s_cbranch_vccnz .LBB0_80
; %bb.79:
	.loc	1 58 48 is_stmt 1               ; persistent_matmul.py:58:48
	s_mul_i32 s1, s74, s13
	.loc	1 58 60 is_stmt 0               ; persistent_matmul.py:58:60
	v_add_u32_e32 v34, s1, v89
	.loc	1 58 30                         ; persistent_matmul.py:58:30
	v_ashrrev_i32_e32 v35, 31, v34
	v_lshl_add_u64 v[34:35], v[34:35], 1, s[4:5]
	.loc	1 61 24 is_stmt 1               ; persistent_matmul.py:61:24
	global_load_ushort v32, v[34:35], off
	s_branch .LBB0_81
.LBB0_80:
	.loc	1 0 24 is_stmt 0                ; persistent_matmul.py:0:24
	v_mov_b32_e32 v32, 0
.LBB0_81:
	.loc	1 60 24 is_stmt 1               ; persistent_matmul.py:60:24
	v_lshlrev_b32_e32 v33, 1, v33
	s_lshr_b32 s0, s0, 3
	v_xor_b32_e32 v33, s0, v33
	v_add_u32_e32 v90, 0, v33
	s_waitcnt vmcnt(0)
	ds_write_b16 v90, v2
	ds_write_b16 v90, v4 offset:2048
	ds_write_b16 v90, v6 offset:4096
	;; [unrolled: 1-line block ×7, first 2 shown]
	v_xor_b32_e32 v2, 64, v33
	v_add_u32_e32 v91, 0, v2
	ds_write_b16 v91, v1 offset:1024
	ds_write_b16 v91, v3 offset:3072
	;; [unrolled: 1-line block ×8, first 2 shown]
	.loc	1 61 24                         ; persistent_matmul.py:61:24
	ds_write_b16 v90, v17 offset:16384
	ds_write_b16 v90, v21 offset:20480
	;; [unrolled: 1-line block ×8, first 2 shown]
	v_xor_b32_e32 v1, 0x80, v33
	v_add_u32_e32 v92, 0, v1
	v_xor_b32_e32 v1, 0xc0, v33
	.loc	1 43 59                         ; persistent_matmul.py:43:59
	s_add_i32 s83, s79, -1
	.loc	1 60 24                         ; persistent_matmul.py:60:24
	s_mov_b32 s77, 0
	.loc	1 61 24                         ; persistent_matmul.py:61:24
	v_add_u32_e32 v93, 0, v1
	.loc	1 43 59                         ; persistent_matmul.py:43:59
	s_cmp_gt_i32 s83, 0
	v_and_b32_e32 v1, 44, v0
	v_lshlrev_b32_e32 v88, 3, v0
	v_lshlrev_b32_e32 v0, 1, v0
	.loc	1 61 24                         ; persistent_matmul.py:61:24
	ds_write_b16 v92, v19 offset:18432
	ds_write_b16 v92, v23 offset:22528
	;; [unrolled: 1-line block ×8, first 2 shown]
	.loc	1 43 59                         ; persistent_matmul.py:43:59
	s_cbranch_scc1 .LBB0_84
; %bb.82:                               ; %.._crit_edge_crit_edge
	.loc	1 61 24                         ; persistent_matmul.py:61:24
	v_and_b32_e32 v2, 24, v88
	v_lshlrev_b32_e32 v3, 2, v1
	v_lshl_or_b32 v2, v1, 6, v2
	v_bitop3_b32 v3, v0, v3, 32 bitop3:0x6c
	v_xor_b32_e32 v2, v3, v2
	v_xor_b32_e32 v98, s22, v2
	;; [unrolled: 1-line block ×3, first 2 shown]
	s_add_i32 s84, s84, -1
	s_cbranch_execz .LBB0_85
; %bb.83:
	.loc	1 0 24 is_stmt 0                ; persistent_matmul.py:0:24
	v_mov_b32_e32 v31, 0
	v_mov_b32_e32 v30, v31
	;; [unrolled: 1-line block ×32, first 2 shown]
	s_mov_b32 s0, s16
	s_branch .LBB0_342
.LBB0_84:
                                        ; implicit-def: $vgpr98
                                        ; implicit-def: $vgpr32
	s_add_i32 s84, s84, -1
.LBB0_85:                               ; %.lr.ph
	.loc	1 43 59 is_stmt 1               ; persistent_matmul.py:43:59
	s_cmp_lg_u32 s84, 0
	s_cselect_b64 s[0:1], -1, 0
	s_cmp_eq_u32 s84, 0
	s_mov_b32 s23, 0
	s_cselect_b64 s[18:19], -1, 0
	s_and_b64 vcc, exec, s[0:1]
	v_writelane_b32 v150, s30, 20
	s_cbranch_vccnz .LBB0_87
; %bb.86:
	s_add_i32 s75, s16, 0x130
.Ltmp18:
	.loc	1 10 26                         ; persistent_matmul.py:10:26 @[ persistent_matmul.py:44:88 ]
	s_abs_i32 s24, s75
	v_readlane_b32 s25, v150, 2
	s_mul_hi_u32 s25, s24, s25
	s_mul_i32 s26, s25, s60
	s_ashr_i32 s20, s75, 31
	v_readlane_b32 s21, v150, 1
	s_sub_i32 s26, s24, s26
	s_xor_b32 s21, s20, s21
	s_add_i32 s27, s25, 1
	s_sub_i32 s28, s26, s60
	s_cmp_ge_u32 s26, s60
	s_cselect_b32 s25, s27, s25
	s_cselect_b32 s26, s28, s26
	s_add_i32 s27, s25, 1
	s_cmp_ge_u32 s26, s60
	s_cselect_b32 s25, s27, s25
	s_xor_b32 s25, s25, s21
	s_sub_i32 s21, s25, s21
	.loc	1 11 29                         ; persistent_matmul.py:11:29 @[ persistent_matmul.py:44:88 ]
	s_lshl_b32 s25, s21, 3
	.loc	1 12 35                         ; persistent_matmul.py:12:35 @[ persistent_matmul.py:44:88 ]
	s_sub_i32 s26, s33, s25
	.loc	1 12 48 is_stmt 0               ; persistent_matmul.py:12:48 @[ persistent_matmul.py:44:88 ]
	s_min_i32 s26, s26, 8
	.loc	1 13 37 is_stmt 1               ; persistent_matmul.py:13:37 @[ persistent_matmul.py:44:88 ]
	s_abs_i32 s27, s26
	v_cvt_f32_u32_e32 v2, s27
	s_sub_i32 s28, 0, s27
	.loc	1 14 23                         ; persistent_matmul.py:14:23 @[ persistent_matmul.py:44:88 ]
	s_mul_i32 s21, s21, s59
.Ltmp19:
	.loc	1 47 28                         ; persistent_matmul.py:47:28
	v_readlane_b32 s30, v150, 8
.Ltmp20:
	.loc	1 13 37                         ; persistent_matmul.py:13:37 @[ persistent_matmul.py:44:88 ]
	v_rcp_iflag_f32_e32 v2, v2
.Ltmp21:
	.loc	1 47 28                         ; persistent_matmul.py:47:28
	v_readlane_b32 s31, v150, 9
	v_readlane_b32 s34, v150, 10
	;; [unrolled: 1-line block ×3, first 2 shown]
.Ltmp22:
	.loc	1 13 37                         ; persistent_matmul.py:13:37 @[ persistent_matmul.py:44:88 ]
	v_mul_f32_e32 v2, 0x4f7ffffe, v2
	v_cvt_u32_f32_e32 v2, v2
.Ltmp23:
	.loc	1 47 28                         ; persistent_matmul.py:47:28
	v_readlane_b32 s36, v150, 12
	v_readlane_b32 s37, v150, 13
	;; [unrolled: 1-line block ×3, first 2 shown]
.Ltmp24:
	.loc	1 13 37                         ; persistent_matmul.py:13:37 @[ persistent_matmul.py:44:88 ]
	v_readfirstlane_b32 s29, v2
	s_mul_i32 s28, s28, s29
	s_mul_hi_u32 s28, s29, s28
	s_add_i32 s29, s29, s28
	s_mul_hi_u32 s28, s24, s29
	s_mul_i32 s28, s28, s27
	s_sub_i32 s24, s24, s28
	s_sub_i32 s28, s24, s27
	s_cmp_ge_u32 s24, s27
	s_cselect_b32 s24, s28, s24
	s_sub_i32 s28, s24, s27
	s_cmp_ge_u32 s24, s27
	s_cselect_b32 s24, s28, s24
	s_xor_b32 s24, s24, s20
	.loc	1 14 23                         ; persistent_matmul.py:14:23 @[ persistent_matmul.py:44:88 ]
	s_sub_i32 s21, s75, s21
	.loc	1 13 37                         ; persistent_matmul.py:13:37 @[ persistent_matmul.py:44:88 ]
	s_sub_i32 s20, s24, s20
	.loc	1 13 27 is_stmt 0               ; persistent_matmul.py:13:27 @[ persistent_matmul.py:44:88 ]
	s_add_i32 s25, s25, s20
	.loc	1 14 44 is_stmt 1               ; persistent_matmul.py:14:44 @[ persistent_matmul.py:44:88 ]
	s_abs_i32 s20, s21
	s_xor_b32 s26, s21, s26
	s_mul_hi_u32 s21, s20, s29
	s_ashr_i32 s24, s26, 31
	s_mul_i32 s26, s21, s27
	s_sub_i32 s20, s20, s26
	s_add_i32 s26, s21, 1
	s_sub_i32 s28, s20, s27
	s_cmp_ge_u32 s20, s27
	s_cselect_b32 s21, s26, s21
	s_cselect_b32 s20, s28, s20
	s_add_i32 s26, s21, 1
	s_cmp_ge_u32 s20, s27
	s_cselect_b32 s20, s26, s21
	s_xor_b32 s20, s20, s24
.Ltmp25:
	.loc	1 45 26                         ; persistent_matmul.py:45:26
	s_lshl_b32 s21, s25, 7
	.loc	1 47 28                         ; persistent_matmul.py:47:28
	v_readlane_b32 s25, v150, 3
	v_readlane_b32 s26, v150, 4
	;; [unrolled: 1-line block ×8, first 2 shown]
.Ltmp26:
	.loc	1 14 44                         ; persistent_matmul.py:14:44 @[ persistent_matmul.py:44:88 ]
	s_sub_i32 s20, s20, s24
.Ltmp27:
	.loc	1 47 28                         ; persistent_matmul.py:47:28
	s_or_b32 s24, s21, s64
	s_or_b32 s25, s21, s25
	s_or_b32 s26, s21, s26
	s_or_b32 s27, s21, s27
	s_or_b32 s28, s21, s28
	s_or_b32 s29, s21, s29
	s_or_b32 s30, s21, s30
	s_or_b32 s31, s21, s31
	s_or_b32 s34, s21, s34
	s_or_b32 s35, s21, s35
	s_or_b32 s36, s21, s36
	s_or_b32 s37, s21, s37
	s_or_b32 s38, s21, s38
	s_or_b32 s39, s21, s39
	s_or_b32 s40, s21, s40
	s_or_b32 s21, s21, s41
	.loc	1 49 37                         ; persistent_matmul.py:49:37
	s_cmp_lt_i32 s24, s8
	.loc	1 48 28                         ; persistent_matmul.py:48:28
	v_lshl_or_b32 v2, s20, 7, v87
	.loc	1 49 49                         ; persistent_matmul.py:49:49
	s_cselect_b32 s20, s24, 0
	.loc	1 49 37 is_stmt 0               ; persistent_matmul.py:49:37
	s_cmp_lt_i32 s25, s8
	.loc	1 49 49                         ; persistent_matmul.py:49:49
	s_cselect_b32 s24, s25, 0
	.loc	1 49 37                         ; persistent_matmul.py:49:37
	s_cmp_lt_i32 s26, s8
	.loc	1 49 49                         ; persistent_matmul.py:49:49
	s_cselect_b32 s25, s26, 0
	.loc	1 49 37                         ; persistent_matmul.py:49:37
	;; [unrolled: 4-line block ×14, first 2 shown]
	s_cmp_lt_i32 s21, s8
	.loc	1 50 37 is_stmt 1               ; persistent_matmul.py:50:37
	v_cmp_gt_i32_e32 vcc, s9, v2
	.loc	1 49 49                         ; persistent_matmul.py:49:49
	s_cselect_b32 s21, s21, 0
	.loc	1 57 49                         ; persistent_matmul.py:57:49
	s_mul_i32 s61, s20, s11
	.loc	1 50 49                         ; persistent_matmul.py:50:49
	v_cndmask_b32_e32 v2, 0, v2, vcc
	.loc	1 58 79                         ; persistent_matmul.py:58:79
	v_readlane_b32 s20, v150, 0
	.loc	1 57 49                         ; persistent_matmul.py:57:49
	s_mul_i32 s78, s24, s11
	s_mul_i32 s80, s25, s11
	;; [unrolled: 1-line block ×15, first 2 shown]
	.loc	1 58 79                         ; persistent_matmul.py:58:79
	v_mul_lo_u32 v89, v2, s20
	s_branch .LBB0_88
.LBB0_87:
	.loc	1 0 79 is_stmt 0                ; persistent_matmul.py:0:79
	s_mov_b32 s23, 64
	s_mov_b32 s75, s16
.LBB0_88:
	.loc	1 56 41 is_stmt 1               ; persistent_matmul.py:56:41
	v_or_b32_e32 v2, s23, v86
	.loc	1 60 68                         ; persistent_matmul.py:60:68
	s_sub_i32 s24, s10, s23
	.loc	1 57 79                         ; persistent_matmul.py:57:79
	v_mul_lo_u32 v2, v2, s12
	.loc	1 60 64                         ; persistent_matmul.py:60:64
	v_cmp_gt_i32_e32 vcc, s24, v86
	v_mov_b32_e32 v101, 0
	v_mov_b32_e32 v102, 0
	.loc	1 60 24 is_stmt 0               ; persistent_matmul.py:60:24
	s_and_saveexec_b64 s[20:21], vcc
	s_cbranch_execz .LBB0_90
; %bb.89:
	.loc	1 0 24                          ; persistent_matmul.py:0:24
	v_add_u32_e32 v4, s61, v2
	v_ashrrev_i32_e32 v5, 31, v4
	v_lshl_add_u64 v[4:5], v[4:5], 1, s[2:3]
	.loc	1 60 24                         ; persistent_matmul.py:60:24
	global_load_ushort v102, v[4:5], off
.LBB0_90:
	.loc	1 0 24                          ; persistent_matmul.py:0:24
	s_or_b64 exec, exec, s[20:21]
	.loc	1 60 24                         ; persistent_matmul.py:60:24
	s_and_saveexec_b64 s[20:21], vcc
	s_cbranch_execz .LBB0_92
; %bb.91:
	.loc	1 57 61 is_stmt 1               ; persistent_matmul.py:57:61
	v_add_u32_e32 v4, s78, v2
	.loc	1 57 30 is_stmt 0               ; persistent_matmul.py:57:30
	v_ashrrev_i32_e32 v5, 31, v4
	v_lshl_add_u64 v[4:5], v[4:5], 1, s[2:3]
	.loc	1 60 24 is_stmt 1               ; persistent_matmul.py:60:24
	global_load_ushort v101, v[4:5], off
.LBB0_92:
	.loc	1 0 24 is_stmt 0                ; persistent_matmul.py:0:24
	s_or_b64 exec, exec, s[20:21]
	v_mov_b32_e32 v103, 0
	v_mov_b32_e32 v104, 0
	.loc	1 60 24                         ; persistent_matmul.py:60:24
	s_and_saveexec_b64 s[20:21], vcc
	s_cbranch_execz .LBB0_94
; %bb.93:
	.loc	1 57 61 is_stmt 1               ; persistent_matmul.py:57:61
	v_add_u32_e32 v4, s80, v2
	.loc	1 57 30 is_stmt 0               ; persistent_matmul.py:57:30
	v_ashrrev_i32_e32 v5, 31, v4
	v_lshl_add_u64 v[4:5], v[4:5], 1, s[2:3]
	.loc	1 60 24 is_stmt 1               ; persistent_matmul.py:60:24
	global_load_ushort v104, v[4:5], off
.LBB0_94:
	.loc	1 0 24 is_stmt 0                ; persistent_matmul.py:0:24
	s_or_b64 exec, exec, s[20:21]
	.loc	1 60 24                         ; persistent_matmul.py:60:24
	s_and_saveexec_b64 s[20:21], vcc
	s_cbranch_execz .LBB0_96
; %bb.95:
	.loc	1 57 61 is_stmt 1               ; persistent_matmul.py:57:61
	v_add_u32_e32 v4, s82, v2
	.loc	1 57 30 is_stmt 0               ; persistent_matmul.py:57:30
	v_ashrrev_i32_e32 v5, 31, v4
	v_lshl_add_u64 v[4:5], v[4:5], 1, s[2:3]
	.loc	1 60 24 is_stmt 1               ; persistent_matmul.py:60:24
	global_load_ushort v103, v[4:5], off
.LBB0_96:
	.loc	1 0 24 is_stmt 0                ; persistent_matmul.py:0:24
	s_or_b64 exec, exec, s[20:21]
	v_mov_b32_e32 v105, 0
	v_mov_b32_e32 v106, 0
	.loc	1 60 24                         ; persistent_matmul.py:60:24
	s_and_saveexec_b64 s[20:21], vcc
	s_cbranch_execz .LBB0_98
; %bb.97:
	.loc	1 57 61 is_stmt 1               ; persistent_matmul.py:57:61
	v_add_u32_e32 v4, s85, v2
	.loc	1 57 30 is_stmt 0               ; persistent_matmul.py:57:30
	v_ashrrev_i32_e32 v5, 31, v4
	v_lshl_add_u64 v[4:5], v[4:5], 1, s[2:3]
	.loc	1 60 24 is_stmt 1               ; persistent_matmul.py:60:24
	global_load_ushort v106, v[4:5], off
.LBB0_98:
	.loc	1 0 24 is_stmt 0                ; persistent_matmul.py:0:24
	;; [unrolled: 30-line block ×7, first 2 shown]
	s_or_b64 exec, exec, s[20:21]
	.loc	1 60 24                         ; persistent_matmul.py:60:24
	s_and_saveexec_b64 s[20:21], vcc
	s_cbranch_execz .LBB0_120
; %bb.119:
	.loc	1 57 61 is_stmt 1               ; persistent_matmul.py:57:61
	v_add_u32_e32 v2, s70, v2
	.loc	1 57 30 is_stmt 0               ; persistent_matmul.py:57:30
	v_ashrrev_i32_e32 v3, 31, v2
	v_lshl_add_u64 v[2:3], v[2:3], 1, s[2:3]
	.loc	1 60 24 is_stmt 1               ; persistent_matmul.py:60:24
	global_load_ushort v115, v[2:3], off
.LBB0_120:
	.loc	1 0 24 is_stmt 0                ; persistent_matmul.py:0:24
	s_or_b64 exec, exec, s[20:21]
	v_lshlrev_b32_e32 v2, 7, v84
	v_and_b32_e32 v3, 0x70, v88
	v_lshrrev_b32_e32 v4, 1, v85
	v_readlane_b32 s20, v150, 20
	s_lshl_b32 s20, s20, 4
	v_or_b32_e32 v5, v2, v3
	v_bitop3_b32 v2, v2, v4, v3 bitop3:0x36
	v_mov_b32_e32 v6, 0x60
	v_bitop3_b32 v3, s20, v5, v4 bitop3:0xf6
	v_bitop3_b32 v4, s20, 32, v2 bitop3:0x36
	;; [unrolled: 1-line block ×4, first 2 shown]
	.loc	1 60 24                         ; persistent_matmul.py:60:24
	v_add_u32_e32 v94, 0, v3
	v_add_u32_e32 v95, 0, v4
	;; [unrolled: 1-line block ×4, first 2 shown]
	s_waitcnt lgkmcnt(0)
	s_barrier
	ds_read_b128 v[16:19], v94
	ds_read_b128 v[52:55], v94 offset:8192
	ds_read_b128 v[44:47], v95
	ds_read_b128 v[36:39], v95 offset:8192
	;; [unrolled: 2-line block ×4, first 2 shown]
	.loc	1 61 64 is_stmt 1               ; persistent_matmul.py:61:64
	s_cmp_ge_i32 s86, s24
	.loc	1 61 24 is_stmt 0               ; persistent_matmul.py:61:24
	s_cbranch_scc1 .LBB0_137
; %bb.121:
	.loc	1 56 41 is_stmt 1               ; persistent_matmul.py:56:41
	s_or_b32 s20, s23, s86
	.loc	1 58 48                         ; persistent_matmul.py:58:48
	s_mul_i32 s20, s20, s13
	.loc	1 58 60 is_stmt 0               ; persistent_matmul.py:58:60
	v_add_u32_e32 v2, s20, v89
	.loc	1 58 30                         ; persistent_matmul.py:58:30
	v_ashrrev_i32_e32 v3, 31, v2
	v_lshl_add_u64 v[2:3], v[2:3], 1, s[4:5]
	.loc	1 61 24 is_stmt 1               ; persistent_matmul.py:61:24
	global_load_ushort v117, v[2:3], off
	.loc	1 61 64 is_stmt 0               ; persistent_matmul.py:61:64
	s_cmp_ge_i32 s14, s24
	.loc	1 61 24                         ; persistent_matmul.py:61:24
	s_cbranch_scc0 .LBB0_138
.LBB0_122:
	.loc	1 0 24                          ; persistent_matmul.py:0:24
	v_mov_b32_e32 v118, 0
	.loc	1 61 64                         ; persistent_matmul.py:61:64
	s_cmp_ge_i32 s90, s24
	.loc	1 61 24                         ; persistent_matmul.py:61:24
	s_cbranch_scc0 .LBB0_139
.LBB0_123:
	.loc	1 0 24                          ; persistent_matmul.py:0:24
	v_mov_b32_e32 v119, 0
	.loc	1 61 64                         ; persistent_matmul.py:61:64
	s_cmp_ge_i32 s92, s24
	.loc	1 61 24                         ; persistent_matmul.py:61:24
	s_cbranch_scc0 .LBB0_140
.LBB0_124:
	.loc	1 0 24                          ; persistent_matmul.py:0:24
	v_mov_b32_e32 v120, 0
	.loc	1 61 64                         ; persistent_matmul.py:61:64
	s_cmp_ge_i32 s94, s24
	.loc	1 61 24                         ; persistent_matmul.py:61:24
	s_cbranch_scc0 .LBB0_141
.LBB0_125:
	.loc	1 0 24                          ; persistent_matmul.py:0:24
	v_mov_b32_e32 v121, 0
	.loc	1 61 64                         ; persistent_matmul.py:61:64
	s_cmp_ge_i32 s96, s24
	.loc	1 61 24                         ; persistent_matmul.py:61:24
	s_cbranch_scc0 .LBB0_142
.LBB0_126:
	.loc	1 0 24                          ; persistent_matmul.py:0:24
	v_mov_b32_e32 v122, 0
	.loc	1 61 64                         ; persistent_matmul.py:61:64
	s_cmp_ge_i32 s98, s24
	.loc	1 61 24                         ; persistent_matmul.py:61:24
	s_cbranch_scc0 .LBB0_143
.LBB0_127:
	.loc	1 0 24                          ; persistent_matmul.py:0:24
	v_mov_b32_e32 v123, 0
	.loc	1 61 64                         ; persistent_matmul.py:61:64
	s_cmp_ge_i32 s52, s24
	.loc	1 61 24                         ; persistent_matmul.py:61:24
	s_cbranch_scc0 .LBB0_144
.LBB0_128:
	.loc	1 0 24                          ; persistent_matmul.py:0:24
	v_mov_b32_e32 v124, 0
	.loc	1 61 64                         ; persistent_matmul.py:61:64
	s_cmp_ge_i32 s63, s24
	.loc	1 61 24                         ; persistent_matmul.py:61:24
	s_cbranch_scc0 .LBB0_145
.LBB0_129:
	.loc	1 0 24                          ; persistent_matmul.py:0:24
	v_mov_b32_e32 v125, 0
	.loc	1 61 64                         ; persistent_matmul.py:61:64
	s_cmp_ge_i32 s65, s24
	.loc	1 61 24                         ; persistent_matmul.py:61:24
	s_cbranch_scc0 .LBB0_146
.LBB0_130:
	.loc	1 0 24                          ; persistent_matmul.py:0:24
	v_mov_b32_e32 v126, 0
	.loc	1 61 64                         ; persistent_matmul.py:61:64
	s_cmp_ge_i32 s67, s24
	.loc	1 61 24                         ; persistent_matmul.py:61:24
	s_cbranch_scc0 .LBB0_147
.LBB0_131:
	.loc	1 0 24                          ; persistent_matmul.py:0:24
	v_mov_b32_e32 v127, 0
	.loc	1 61 64                         ; persistent_matmul.py:61:64
	s_cmp_ge_i32 s69, s24
	.loc	1 61 24                         ; persistent_matmul.py:61:24
	s_cbranch_scc0 .LBB0_148
.LBB0_132:
	.loc	1 0 24                          ; persistent_matmul.py:0:24
	v_mov_b32_e32 v128, 0
	.loc	1 61 64                         ; persistent_matmul.py:61:64
	s_cmp_ge_i32 s71, s24
	.loc	1 61 24                         ; persistent_matmul.py:61:24
	s_cbranch_scc0 .LBB0_149
.LBB0_133:
	.loc	1 0 24                          ; persistent_matmul.py:0:24
	v_mov_b32_e32 v129, 0
	.loc	1 61 64                         ; persistent_matmul.py:61:64
	s_cmp_ge_i32 s72, s24
	.loc	1 61 24                         ; persistent_matmul.py:61:24
	s_cbranch_scc0 .LBB0_150
.LBB0_134:
	.loc	1 0 24                          ; persistent_matmul.py:0:24
	v_mov_b32_e32 v130, 0
	.loc	1 61 64                         ; persistent_matmul.py:61:64
	s_cmp_ge_i32 s73, s24
	.loc	1 61 24                         ; persistent_matmul.py:61:24
	s_cbranch_scc0 .LBB0_151
.LBB0_135:
	.loc	1 0 24                          ; persistent_matmul.py:0:24
	v_mov_b32_e32 v131, 0
	.loc	1 61 64                         ; persistent_matmul.py:61:64
	s_cmp_ge_i32 s74, s24
	.loc	1 61 24                         ; persistent_matmul.py:61:24
	s_cbranch_scc0 .LBB0_152
.LBB0_136:
	.loc	1 0 24                          ; persistent_matmul.py:0:24
	v_mov_b32_e32 v132, 0
	.loc	1 61 24                         ; persistent_matmul.py:61:24
	s_branch .LBB0_153
.LBB0_137:
	.loc	1 0 24                          ; persistent_matmul.py:0:24
	v_mov_b32_e32 v117, 0
	.loc	1 61 64                         ; persistent_matmul.py:61:64
	s_cmp_ge_i32 s14, s24
	.loc	1 61 24                         ; persistent_matmul.py:61:24
	s_cbranch_scc1 .LBB0_122
.LBB0_138:
	.loc	1 56 41 is_stmt 1               ; persistent_matmul.py:56:41
	s_or_b32 s20, s23, s14
	.loc	1 58 48                         ; persistent_matmul.py:58:48
	s_mul_i32 s20, s20, s13
	.loc	1 58 60 is_stmt 0               ; persistent_matmul.py:58:60
	v_add_u32_e32 v2, s20, v89
	.loc	1 58 30                         ; persistent_matmul.py:58:30
	v_ashrrev_i32_e32 v3, 31, v2
	v_lshl_add_u64 v[2:3], v[2:3], 1, s[4:5]
	.loc	1 61 24 is_stmt 1               ; persistent_matmul.py:61:24
	global_load_ushort v118, v[2:3], off
	.loc	1 61 64 is_stmt 0               ; persistent_matmul.py:61:64
	s_cmp_ge_i32 s90, s24
	.loc	1 61 24                         ; persistent_matmul.py:61:24
	s_cbranch_scc1 .LBB0_123
.LBB0_139:
	.loc	1 56 41 is_stmt 1               ; persistent_matmul.py:56:41
	s_or_b32 s20, s23, s90
	.loc	1 58 48                         ; persistent_matmul.py:58:48
	s_mul_i32 s20, s20, s13
	.loc	1 58 60 is_stmt 0               ; persistent_matmul.py:58:60
	v_add_u32_e32 v2, s20, v89
	.loc	1 58 30                         ; persistent_matmul.py:58:30
	v_ashrrev_i32_e32 v3, 31, v2
	v_lshl_add_u64 v[2:3], v[2:3], 1, s[4:5]
	.loc	1 61 24 is_stmt 1               ; persistent_matmul.py:61:24
	global_load_ushort v119, v[2:3], off
	.loc	1 61 64 is_stmt 0               ; persistent_matmul.py:61:64
	s_cmp_ge_i32 s92, s24
	.loc	1 61 24                         ; persistent_matmul.py:61:24
	s_cbranch_scc1 .LBB0_124
.LBB0_140:
	.loc	1 56 41 is_stmt 1               ; persistent_matmul.py:56:41
	s_or_b32 s20, s23, s92
	.loc	1 58 48                         ; persistent_matmul.py:58:48
	s_mul_i32 s20, s20, s13
	.loc	1 58 60 is_stmt 0               ; persistent_matmul.py:58:60
	v_add_u32_e32 v2, s20, v89
	.loc	1 58 30                         ; persistent_matmul.py:58:30
	v_ashrrev_i32_e32 v3, 31, v2
	v_lshl_add_u64 v[2:3], v[2:3], 1, s[4:5]
	.loc	1 61 24 is_stmt 1               ; persistent_matmul.py:61:24
	global_load_ushort v120, v[2:3], off
	.loc	1 61 64 is_stmt 0               ; persistent_matmul.py:61:64
	s_cmp_ge_i32 s94, s24
	.loc	1 61 24                         ; persistent_matmul.py:61:24
	s_cbranch_scc1 .LBB0_125
.LBB0_141:
	.loc	1 56 41 is_stmt 1               ; persistent_matmul.py:56:41
	s_or_b32 s20, s23, s94
	.loc	1 58 48                         ; persistent_matmul.py:58:48
	s_mul_i32 s20, s20, s13
	.loc	1 58 60 is_stmt 0               ; persistent_matmul.py:58:60
	v_add_u32_e32 v2, s20, v89
	.loc	1 58 30                         ; persistent_matmul.py:58:30
	v_ashrrev_i32_e32 v3, 31, v2
	v_lshl_add_u64 v[2:3], v[2:3], 1, s[4:5]
	.loc	1 61 24 is_stmt 1               ; persistent_matmul.py:61:24
	global_load_ushort v121, v[2:3], off
	.loc	1 61 64 is_stmt 0               ; persistent_matmul.py:61:64
	s_cmp_ge_i32 s96, s24
	.loc	1 61 24                         ; persistent_matmul.py:61:24
	s_cbranch_scc1 .LBB0_126
.LBB0_142:
	.loc	1 56 41 is_stmt 1               ; persistent_matmul.py:56:41
	s_or_b32 s20, s23, s96
	.loc	1 58 48                         ; persistent_matmul.py:58:48
	s_mul_i32 s20, s20, s13
	.loc	1 58 60 is_stmt 0               ; persistent_matmul.py:58:60
	v_add_u32_e32 v2, s20, v89
	.loc	1 58 30                         ; persistent_matmul.py:58:30
	v_ashrrev_i32_e32 v3, 31, v2
	v_lshl_add_u64 v[2:3], v[2:3], 1, s[4:5]
	.loc	1 61 24 is_stmt 1               ; persistent_matmul.py:61:24
	global_load_ushort v122, v[2:3], off
	.loc	1 61 64 is_stmt 0               ; persistent_matmul.py:61:64
	s_cmp_ge_i32 s98, s24
	.loc	1 61 24                         ; persistent_matmul.py:61:24
	s_cbranch_scc1 .LBB0_127
.LBB0_143:
	.loc	1 56 41 is_stmt 1               ; persistent_matmul.py:56:41
	s_or_b32 s20, s23, s98
	.loc	1 58 48                         ; persistent_matmul.py:58:48
	s_mul_i32 s20, s20, s13
	.loc	1 58 60 is_stmt 0               ; persistent_matmul.py:58:60
	v_add_u32_e32 v2, s20, v89
	.loc	1 58 30                         ; persistent_matmul.py:58:30
	v_ashrrev_i32_e32 v3, 31, v2
	v_lshl_add_u64 v[2:3], v[2:3], 1, s[4:5]
	.loc	1 61 24 is_stmt 1               ; persistent_matmul.py:61:24
	global_load_ushort v123, v[2:3], off
	.loc	1 61 64 is_stmt 0               ; persistent_matmul.py:61:64
	s_cmp_ge_i32 s52, s24
	.loc	1 61 24                         ; persistent_matmul.py:61:24
	s_cbranch_scc1 .LBB0_128
.LBB0_144:
	.loc	1 56 41 is_stmt 1               ; persistent_matmul.py:56:41
	s_or_b32 s20, s23, s52
	.loc	1 58 48                         ; persistent_matmul.py:58:48
	s_mul_i32 s20, s20, s13
	.loc	1 58 60 is_stmt 0               ; persistent_matmul.py:58:60
	v_add_u32_e32 v2, s20, v89
	.loc	1 58 30                         ; persistent_matmul.py:58:30
	v_ashrrev_i32_e32 v3, 31, v2
	v_lshl_add_u64 v[2:3], v[2:3], 1, s[4:5]
	.loc	1 61 24 is_stmt 1               ; persistent_matmul.py:61:24
	global_load_ushort v124, v[2:3], off
	.loc	1 61 64 is_stmt 0               ; persistent_matmul.py:61:64
	s_cmp_ge_i32 s63, s24
	.loc	1 61 24                         ; persistent_matmul.py:61:24
	s_cbranch_scc1 .LBB0_129
.LBB0_145:
	.loc	1 56 41 is_stmt 1               ; persistent_matmul.py:56:41
	s_or_b32 s20, s23, s63
	.loc	1 58 48                         ; persistent_matmul.py:58:48
	s_mul_i32 s20, s20, s13
	.loc	1 58 60 is_stmt 0               ; persistent_matmul.py:58:60
	v_add_u32_e32 v2, s20, v89
	.loc	1 58 30                         ; persistent_matmul.py:58:30
	v_ashrrev_i32_e32 v3, 31, v2
	v_lshl_add_u64 v[2:3], v[2:3], 1, s[4:5]
	.loc	1 61 24 is_stmt 1               ; persistent_matmul.py:61:24
	global_load_ushort v125, v[2:3], off
	.loc	1 61 64 is_stmt 0               ; persistent_matmul.py:61:64
	s_cmp_ge_i32 s65, s24
	.loc	1 61 24                         ; persistent_matmul.py:61:24
	s_cbranch_scc1 .LBB0_130
.LBB0_146:
	.loc	1 56 41 is_stmt 1               ; persistent_matmul.py:56:41
	s_or_b32 s20, s23, s65
	.loc	1 58 48                         ; persistent_matmul.py:58:48
	s_mul_i32 s20, s20, s13
	.loc	1 58 60 is_stmt 0               ; persistent_matmul.py:58:60
	v_add_u32_e32 v2, s20, v89
	.loc	1 58 30                         ; persistent_matmul.py:58:30
	v_ashrrev_i32_e32 v3, 31, v2
	v_lshl_add_u64 v[2:3], v[2:3], 1, s[4:5]
	.loc	1 61 24 is_stmt 1               ; persistent_matmul.py:61:24
	global_load_ushort v126, v[2:3], off
	.loc	1 61 64 is_stmt 0               ; persistent_matmul.py:61:64
	s_cmp_ge_i32 s67, s24
	.loc	1 61 24                         ; persistent_matmul.py:61:24
	s_cbranch_scc1 .LBB0_131
.LBB0_147:
	.loc	1 56 41 is_stmt 1               ; persistent_matmul.py:56:41
	s_or_b32 s20, s23, s67
	.loc	1 58 48                         ; persistent_matmul.py:58:48
	s_mul_i32 s20, s20, s13
	.loc	1 58 60 is_stmt 0               ; persistent_matmul.py:58:60
	v_add_u32_e32 v2, s20, v89
	.loc	1 58 30                         ; persistent_matmul.py:58:30
	v_ashrrev_i32_e32 v3, 31, v2
	v_lshl_add_u64 v[2:3], v[2:3], 1, s[4:5]
	.loc	1 61 24 is_stmt 1               ; persistent_matmul.py:61:24
	global_load_ushort v127, v[2:3], off
	.loc	1 61 64 is_stmt 0               ; persistent_matmul.py:61:64
	s_cmp_ge_i32 s69, s24
	.loc	1 61 24                         ; persistent_matmul.py:61:24
	s_cbranch_scc1 .LBB0_132
.LBB0_148:
	.loc	1 56 41 is_stmt 1               ; persistent_matmul.py:56:41
	s_or_b32 s20, s23, s69
	.loc	1 58 48                         ; persistent_matmul.py:58:48
	s_mul_i32 s20, s20, s13
	.loc	1 58 60 is_stmt 0               ; persistent_matmul.py:58:60
	v_add_u32_e32 v2, s20, v89
	.loc	1 58 30                         ; persistent_matmul.py:58:30
	v_ashrrev_i32_e32 v3, 31, v2
	v_lshl_add_u64 v[2:3], v[2:3], 1, s[4:5]
	.loc	1 61 24 is_stmt 1               ; persistent_matmul.py:61:24
	global_load_ushort v128, v[2:3], off
	.loc	1 61 64 is_stmt 0               ; persistent_matmul.py:61:64
	s_cmp_ge_i32 s71, s24
	.loc	1 61 24                         ; persistent_matmul.py:61:24
	s_cbranch_scc1 .LBB0_133
.LBB0_149:
	.loc	1 56 41 is_stmt 1               ; persistent_matmul.py:56:41
	s_or_b32 s20, s23, s71
	.loc	1 58 48                         ; persistent_matmul.py:58:48
	s_mul_i32 s20, s20, s13
	.loc	1 58 60 is_stmt 0               ; persistent_matmul.py:58:60
	v_add_u32_e32 v2, s20, v89
	.loc	1 58 30                         ; persistent_matmul.py:58:30
	v_ashrrev_i32_e32 v3, 31, v2
	v_lshl_add_u64 v[2:3], v[2:3], 1, s[4:5]
	.loc	1 61 24 is_stmt 1               ; persistent_matmul.py:61:24
	global_load_ushort v129, v[2:3], off
	.loc	1 61 64 is_stmt 0               ; persistent_matmul.py:61:64
	s_cmp_ge_i32 s72, s24
	.loc	1 61 24                         ; persistent_matmul.py:61:24
	s_cbranch_scc1 .LBB0_134
.LBB0_150:
	.loc	1 56 41 is_stmt 1               ; persistent_matmul.py:56:41
	s_or_b32 s20, s23, s72
	.loc	1 58 48                         ; persistent_matmul.py:58:48
	s_mul_i32 s20, s20, s13
	.loc	1 58 60 is_stmt 0               ; persistent_matmul.py:58:60
	v_add_u32_e32 v2, s20, v89
	.loc	1 58 30                         ; persistent_matmul.py:58:30
	v_ashrrev_i32_e32 v3, 31, v2
	v_lshl_add_u64 v[2:3], v[2:3], 1, s[4:5]
	.loc	1 61 24 is_stmt 1               ; persistent_matmul.py:61:24
	global_load_ushort v130, v[2:3], off
	.loc	1 61 64 is_stmt 0               ; persistent_matmul.py:61:64
	s_cmp_ge_i32 s73, s24
	.loc	1 61 24                         ; persistent_matmul.py:61:24
	s_cbranch_scc1 .LBB0_135
.LBB0_151:
	.loc	1 56 41 is_stmt 1               ; persistent_matmul.py:56:41
	s_or_b32 s20, s23, s73
	.loc	1 58 48                         ; persistent_matmul.py:58:48
	s_mul_i32 s20, s20, s13
	.loc	1 58 60 is_stmt 0               ; persistent_matmul.py:58:60
	v_add_u32_e32 v2, s20, v89
	.loc	1 58 30                         ; persistent_matmul.py:58:30
	v_ashrrev_i32_e32 v3, 31, v2
	v_lshl_add_u64 v[2:3], v[2:3], 1, s[4:5]
	.loc	1 61 24 is_stmt 1               ; persistent_matmul.py:61:24
	global_load_ushort v131, v[2:3], off
	.loc	1 61 64 is_stmt 0               ; persistent_matmul.py:61:64
	s_cmp_ge_i32 s74, s24
	.loc	1 61 24                         ; persistent_matmul.py:61:24
	s_cbranch_scc1 .LBB0_136
.LBB0_152:
	.loc	1 56 41 is_stmt 1               ; persistent_matmul.py:56:41
	s_or_b32 s20, s23, s74
	.loc	1 58 48                         ; persistent_matmul.py:58:48
	s_mul_i32 s20, s20, s13
	.loc	1 58 60 is_stmt 0               ; persistent_matmul.py:58:60
	v_add_u32_e32 v2, s20, v89
	.loc	1 58 30                         ; persistent_matmul.py:58:30
	v_ashrrev_i32_e32 v3, 31, v2
	v_lshl_add_u64 v[2:3], v[2:3], 1, s[4:5]
	.loc	1 61 24 is_stmt 1               ; persistent_matmul.py:61:24
	global_load_ushort v132, v[2:3], off
.LBB0_153:
	.loc	1 0 24 is_stmt 0                ; persistent_matmul.py:0:24
	v_and_b32_e32 v2, 24, v88
	v_lshlrev_b32_e32 v3, 2, v1
	v_lshl_or_b32 v1, v1, 6, v2
	v_bitop3_b32 v0, v0, v3, 32 bitop3:0x6c
	v_xor_b32_e32 v0, v0, v1
	v_xor_b32_e32 v98, s22, v0
	.loc	1 61 24                         ; persistent_matmul.py:61:24
	v_add_u32_e32 v99, 0, v98
	v_xor_b32_e32 v0, 64, v98
	v_add_u32_e32 v100, 0, v0
	ds_read_b64_tr_b16 v[60:61], v99 offset:16384
	ds_read_b64_tr_b16 v[62:63], v100 offset:17408
	;; [unrolled: 1-line block ×3, first 2 shown]
	.loc	1 62 39 is_stmt 1               ; persistent_matmul.py:62:39
	s_waitcnt lgkmcnt(1)
	v_mfma_f32_32x32x16_f16 v[0:15], v[60:63], v[16:19], 0
	.loc	1 43 59                         ; persistent_matmul.py:43:59
	s_andn2_b64 vcc, exec, s[18:19]
	.loc	1 62 39                         ; persistent_matmul.py:62:39
	v_mfma_f32_32x32x16_f16 v[16:31], v[60:63], v[52:55], 0
	.loc	1 61 24                         ; persistent_matmul.py:61:24
	ds_read_b64_tr_b16 v[136:137], v100 offset:21504
	ds_read_b64_tr_b16 v[52:53], v99 offset:24576
	.loc	1 62 39                         ; persistent_matmul.py:62:39
	s_waitcnt lgkmcnt(1)
	v_mfma_f32_32x32x16_f16 v[0:15], v[134:137], v[44:47], v[0:15]
	.loc	1 61 24                         ; persistent_matmul.py:61:24
	ds_read_b64_tr_b16 v[54:55], v100 offset:25600
	ds_read_b64_tr_b16 v[44:45], v99 offset:28672
	;; [unrolled: 1-line block ×3, first 2 shown]
	.loc	1 62 39                         ; persistent_matmul.py:62:39
	v_mfma_f32_32x32x16_f16 v[16:31], v[134:137], v[36:39], v[16:31]
	s_waitcnt lgkmcnt(2)
	v_mfma_f32_32x32x16_f16 v[0:15], v[52:55], v[48:51], v[0:15]
	v_mfma_f32_32x32x16_f16 v[16:31], v[52:55], v[40:43], v[16:31]
	s_waitcnt lgkmcnt(0)
	v_mfma_f32_32x32x16_f16 v[0:15], v[44:47], v[56:59], v[0:15]
	v_mfma_f32_32x32x16_f16 v[16:31], v[44:47], v[32:35], v[16:31]
	.loc	1 43 59                         ; persistent_matmul.py:43:59
	s_cbranch_vccnz .LBB0_204
; %bb.154:
	.loc	1 66 41                         ; persistent_matmul.py:66:41
	v_or_b32_e32 v36, s56, v66
	.loc	1 68 37                         ; persistent_matmul.py:68:37
	v_mul_lo_u32 v32, v36, s15
	.loc	1 67 41                         ; persistent_matmul.py:67:41
	v_or_b32_e32 v37, s57, v68
	.loc	1 68 25                         ; persistent_matmul.py:68:25
	v_ashrrev_i32_e32 v33, 31, v32
	v_lshl_add_u64 v[34:35], v[32:33], 1, s[6:7]
	.loc	1 68 68 is_stmt 0               ; persistent_matmul.py:68:68
	v_mul_lo_u32 v32, v37, s17
	.loc	1 69 37 is_stmt 1               ; persistent_matmul.py:69:37
	v_cmp_gt_i32_e64 s[46:47], s8, v36
	.loc	1 69 62 is_stmt 0               ; persistent_matmul.py:69:62
	v_cmp_gt_i32_e32 vcc, s9, v37
	.loc	1 73 31 is_stmt 1               ; persistent_matmul.py:73:31
	s_nop 1
	v_cvt_pk_f16_f32 v38, v0, v1
	v_cvt_pk_f16_f32 v42, v2, v3
	;; [unrolled: 1-line block ×16, first 2 shown]
	.loc	1 68 56                         ; persistent_matmul.py:68:56
	v_ashrrev_i32_e32 v33, 31, v32
	.loc	1 69 43                         ; persistent_matmul.py:69:43
	s_and_b64 s[20:21], s[46:47], vcc
	.loc	1 73 31                         ; persistent_matmul.py:73:31
	v_permlane32_swap_b32_e32 v38, v46
	v_permlane32_swap_b32_e32 v42, v50
	;; [unrolled: 1-line block ×8, first 2 shown]
	.loc	1 74 25                         ; persistent_matmul.py:74:25
	s_and_saveexec_b64 s[18:19], s[20:21]
	s_cbranch_execz .LBB0_156
; %bb.155:
	.loc	1 0 25 is_stmt 0                ; persistent_matmul.py:0:25
	v_lshl_add_u64 v[36:37], v[32:33], 1, v[34:35]
	.loc	1 74 25                         ; persistent_matmul.py:74:25
	global_store_short v[36:37], v38, off
.LBB0_156:
	.loc	1 0 25                          ; persistent_matmul.py:0:25
	s_or_b64 exec, exec, s[18:19]
	.loc	1 67 41 is_stmt 1               ; persistent_matmul.py:67:41
	v_or_b32_e32 v39, s57, v69
	.loc	1 68 68                         ; persistent_matmul.py:68:68
	v_mul_lo_u32 v36, v39, s17
	.loc	1 69 62                         ; persistent_matmul.py:69:62
	v_cmp_gt_i32_e64 s[50:51], s9, v39
	.loc	1 68 56                         ; persistent_matmul.py:68:56
	v_ashrrev_i32_e32 v37, 31, v36
	.loc	1 69 43                         ; persistent_matmul.py:69:43
	s_and_b64 s[20:21], s[46:47], s[50:51]
	.loc	1 74 25                         ; persistent_matmul.py:74:25
	s_and_saveexec_b64 s[18:19], s[20:21]
	s_cbranch_execz .LBB0_158
; %bb.157:
	.loc	1 68 56                         ; persistent_matmul.py:68:56
	v_lshl_add_u64 v[40:41], v[36:37], 1, v[34:35]
	.loc	1 74 25                         ; persistent_matmul.py:74:25
	global_store_short_d16_hi v[40:41], v38, off
.LBB0_158:
	.loc	1 0 25 is_stmt 0                ; persistent_matmul.py:0:25
	s_or_b64 exec, exec, s[18:19]
	.loc	1 67 41 is_stmt 1               ; persistent_matmul.py:67:41
	v_or_b32_e32 v40, s57, v70
	.loc	1 68 68                         ; persistent_matmul.py:68:68
	v_mul_lo_u32 v38, v40, s17
	.loc	1 69 62                         ; persistent_matmul.py:69:62
	v_cmp_gt_i32_e64 s[48:49], s9, v40
	.loc	1 68 56                         ; persistent_matmul.py:68:56
	v_ashrrev_i32_e32 v39, 31, v38
	.loc	1 69 43                         ; persistent_matmul.py:69:43
	s_and_b64 s[20:21], s[46:47], s[48:49]
	.loc	1 74 25                         ; persistent_matmul.py:74:25
	s_and_saveexec_b64 s[18:19], s[20:21]
	s_cbranch_execz .LBB0_160
; %bb.159:
	.loc	1 68 56                         ; persistent_matmul.py:68:56
	v_lshl_add_u64 v[40:41], v[38:39], 1, v[34:35]
	.loc	1 74 25                         ; persistent_matmul.py:74:25
	global_store_short v[40:41], v42, off
.LBB0_160:
	.loc	1 0 25 is_stmt 0                ; persistent_matmul.py:0:25
	s_or_b64 exec, exec, s[18:19]
	.loc	1 67 41 is_stmt 1               ; persistent_matmul.py:67:41
	v_or_b32_e32 v43, s57, v71
	.loc	1 68 68                         ; persistent_matmul.py:68:68
	v_mul_lo_u32 v40, v43, s17
	.loc	1 69 62                         ; persistent_matmul.py:69:62
	v_cmp_gt_i32_e64 s[44:45], s9, v43
	.loc	1 68 56                         ; persistent_matmul.py:68:56
	v_ashrrev_i32_e32 v41, 31, v40
	.loc	1 69 43                         ; persistent_matmul.py:69:43
	s_and_b64 s[20:21], s[46:47], s[44:45]
	.loc	1 74 25                         ; persistent_matmul.py:74:25
	s_and_saveexec_b64 s[18:19], s[20:21]
	s_cbranch_execz .LBB0_162
; %bb.161:
	.loc	1 68 56                         ; persistent_matmul.py:68:56
	v_lshl_add_u64 v[44:45], v[40:41], 1, v[34:35]
	.loc	1 74 25                         ; persistent_matmul.py:74:25
	global_store_short_d16_hi v[44:45], v42, off
.LBB0_162:
	.loc	1 0 25 is_stmt 0                ; persistent_matmul.py:0:25
	s_or_b64 exec, exec, s[18:19]
	.loc	1 67 41 is_stmt 1               ; persistent_matmul.py:67:41
	v_or_b32_e32 v44, s57, v72
	.loc	1 68 68                         ; persistent_matmul.py:68:68
	v_mul_lo_u32 v42, v44, s17
	.loc	1 69 62                         ; persistent_matmul.py:69:62
	v_cmp_gt_i32_e64 s[42:43], s9, v44
	.loc	1 68 56                         ; persistent_matmul.py:68:56
	v_ashrrev_i32_e32 v43, 31, v42
	.loc	1 69 43                         ; persistent_matmul.py:69:43
	s_and_b64 s[20:21], s[46:47], s[42:43]
	.loc	1 74 25                         ; persistent_matmul.py:74:25
	s_and_saveexec_b64 s[18:19], s[20:21]
	s_cbranch_execz .LBB0_164
; %bb.163:
	.loc	1 68 56                         ; persistent_matmul.py:68:56
	v_lshl_add_u64 v[44:45], v[42:43], 1, v[34:35]
	.loc	1 74 25                         ; persistent_matmul.py:74:25
	global_store_short v[44:45], v46, off
.LBB0_164:
	.loc	1 0 25 is_stmt 0                ; persistent_matmul.py:0:25
	;; [unrolled: 42-line block ×7, first 2 shown]
	s_or_b64 exec, exec, s[40:41]
	.loc	1 67 41 is_stmt 1               ; persistent_matmul.py:67:41
	v_or_b32_e32 v142, s57, v83
	.loc	1 68 68                         ; persistent_matmul.py:68:68
	v_mul_lo_u32 v64, v142, s17
	.loc	1 69 62                         ; persistent_matmul.py:69:62
	v_cmp_gt_i32_e64 s[40:41], s9, v142
	.loc	1 68 56                         ; persistent_matmul.py:68:56
	v_ashrrev_i32_e32 v65, 31, v64
	.loc	1 69 43                         ; persistent_matmul.py:69:43
	s_and_b64 s[76:77], s[46:47], s[40:41]
	.loc	1 74 25                         ; persistent_matmul.py:74:25
	s_and_saveexec_b64 s[46:47], s[76:77]
	s_cbranch_execz .LBB0_186
; %bb.185:
	.loc	1 68 56                         ; persistent_matmul.py:68:56
	v_lshl_add_u64 v[34:35], v[64:65], 1, v[34:35]
	.loc	1 74 25                         ; persistent_matmul.py:74:25
	global_store_short_d16_hi v[34:35], v141, off
.LBB0_186:
	.loc	1 0 25 is_stmt 0                ; persistent_matmul.py:0:25
	s_or_b64 exec, exec, s[46:47]
	.loc	1 66 41 is_stmt 1               ; persistent_matmul.py:66:41
	v_or_b32_e32 v141, s56, v67
	.loc	1 68 37                         ; persistent_matmul.py:68:37
	v_mul_lo_u32 v34, v141, s15
	.loc	1 68 25 is_stmt 0               ; persistent_matmul.py:68:25
	v_ashrrev_i32_e32 v35, 31, v34
	.loc	1 69 37 is_stmt 1               ; persistent_matmul.py:69:37
	v_cmp_gt_i32_e64 s[46:47], s8, v141
	.loc	1 68 25                         ; persistent_matmul.py:68:25
	v_lshl_add_u64 v[34:35], v[34:35], 1, s[6:7]
	.loc	1 69 43                         ; persistent_matmul.py:69:43
	s_and_b64 s[76:77], s[46:47], vcc
	.loc	1 74 25                         ; persistent_matmul.py:74:25
	s_and_saveexec_b64 s[56:57], s[76:77]
	s_cbranch_execnz .LBB0_480
; %bb.187:
	.loc	1 0 25 is_stmt 0                ; persistent_matmul.py:0:25
	s_or_b64 exec, exec, s[56:57]
	.loc	1 69 43 is_stmt 1               ; persistent_matmul.py:69:43
	s_and_b64 s[56:57], s[46:47], s[50:51]
	.loc	1 74 25                         ; persistent_matmul.py:74:25
	s_and_saveexec_b64 s[50:51], s[56:57]
	s_cbranch_execnz .LBB0_481
.LBB0_188:
	.loc	1 0 25 is_stmt 0                ; persistent_matmul.py:0:25
	s_or_b64 exec, exec, s[50:51]
	.loc	1 69 43 is_stmt 1               ; persistent_matmul.py:69:43
	s_and_b64 s[50:51], s[46:47], s[48:49]
	.loc	1 74 25                         ; persistent_matmul.py:74:25
	s_and_saveexec_b64 s[48:49], s[50:51]
	s_cbranch_execnz .LBB0_482
.LBB0_189:
	.loc	1 0 25 is_stmt 0                ; persistent_matmul.py:0:25
	s_or_b64 exec, exec, s[48:49]
	.loc	1 69 43 is_stmt 1               ; persistent_matmul.py:69:43
	s_and_b64 s[48:49], s[46:47], s[44:45]
	.loc	1 74 25                         ; persistent_matmul.py:74:25
	s_and_saveexec_b64 s[44:45], s[48:49]
	s_cbranch_execnz .LBB0_483
.LBB0_190:
	.loc	1 0 25 is_stmt 0                ; persistent_matmul.py:0:25
	s_or_b64 exec, exec, s[44:45]
	.loc	1 69 43 is_stmt 1               ; persistent_matmul.py:69:43
	s_and_b64 s[44:45], s[46:47], s[42:43]
	.loc	1 74 25                         ; persistent_matmul.py:74:25
	s_and_saveexec_b64 s[42:43], s[44:45]
	s_cbranch_execnz .LBB0_484
.LBB0_191:
	.loc	1 0 25 is_stmt 0                ; persistent_matmul.py:0:25
	s_or_b64 exec, exec, s[42:43]
	.loc	1 69 43 is_stmt 1               ; persistent_matmul.py:69:43
	s_and_b64 s[42:43], s[46:47], s[18:19]
	.loc	1 74 25                         ; persistent_matmul.py:74:25
	s_and_saveexec_b64 s[18:19], s[42:43]
	s_cbranch_execnz .LBB0_485
.LBB0_192:
	.loc	1 0 25 is_stmt 0                ; persistent_matmul.py:0:25
	s_or_b64 exec, exec, s[18:19]
	.loc	1 69 43 is_stmt 1               ; persistent_matmul.py:69:43
	s_and_b64 s[20:21], s[46:47], s[20:21]
	.loc	1 74 25                         ; persistent_matmul.py:74:25
	s_and_saveexec_b64 s[18:19], s[20:21]
	s_cbranch_execnz .LBB0_486
.LBB0_193:
	.loc	1 0 25 is_stmt 0                ; persistent_matmul.py:0:25
	s_or_b64 exec, exec, s[18:19]
	.loc	1 69 43 is_stmt 1               ; persistent_matmul.py:69:43
	s_and_b64 s[20:21], s[46:47], s[22:23]
	.loc	1 74 25                         ; persistent_matmul.py:74:25
	s_and_saveexec_b64 s[18:19], s[20:21]
	s_cbranch_execnz .LBB0_487
.LBB0_194:
	.loc	1 0 25 is_stmt 0                ; persistent_matmul.py:0:25
	s_or_b64 exec, exec, s[18:19]
	.loc	1 69 43 is_stmt 1               ; persistent_matmul.py:69:43
	s_and_b64 s[20:21], s[46:47], s[24:25]
	.loc	1 74 25                         ; persistent_matmul.py:74:25
	s_and_saveexec_b64 s[18:19], s[20:21]
	s_cbranch_execnz .LBB0_488
.LBB0_195:
	.loc	1 0 25 is_stmt 0                ; persistent_matmul.py:0:25
	s_or_b64 exec, exec, s[18:19]
	.loc	1 69 43 is_stmt 1               ; persistent_matmul.py:69:43
	s_and_b64 s[20:21], s[46:47], s[26:27]
	.loc	1 74 25                         ; persistent_matmul.py:74:25
	s_and_saveexec_b64 s[18:19], s[20:21]
	s_cbranch_execnz .LBB0_489
.LBB0_196:
	.loc	1 0 25 is_stmt 0                ; persistent_matmul.py:0:25
	s_or_b64 exec, exec, s[18:19]
	.loc	1 69 43 is_stmt 1               ; persistent_matmul.py:69:43
	s_and_b64 s[20:21], s[46:47], s[28:29]
	.loc	1 74 25                         ; persistent_matmul.py:74:25
	s_and_saveexec_b64 s[18:19], s[20:21]
	s_cbranch_execnz .LBB0_490
.LBB0_197:
	.loc	1 0 25 is_stmt 0                ; persistent_matmul.py:0:25
	s_or_b64 exec, exec, s[18:19]
	.loc	1 69 43 is_stmt 1               ; persistent_matmul.py:69:43
	s_and_b64 s[20:21], s[46:47], s[30:31]
	.loc	1 74 25                         ; persistent_matmul.py:74:25
	s_and_saveexec_b64 s[18:19], s[20:21]
	s_cbranch_execnz .LBB0_491
.LBB0_198:
	.loc	1 0 25 is_stmt 0                ; persistent_matmul.py:0:25
	s_or_b64 exec, exec, s[18:19]
	.loc	1 69 43 is_stmt 1               ; persistent_matmul.py:69:43
	s_and_b64 s[20:21], s[46:47], s[34:35]
	.loc	1 74 25                         ; persistent_matmul.py:74:25
	s_and_saveexec_b64 s[18:19], s[20:21]
	s_cbranch_execnz .LBB0_492
.LBB0_199:
	.loc	1 0 25 is_stmt 0                ; persistent_matmul.py:0:25
	s_or_b64 exec, exec, s[18:19]
	.loc	1 69 43 is_stmt 1               ; persistent_matmul.py:69:43
	s_and_b64 s[20:21], s[46:47], s[36:37]
	.loc	1 74 25                         ; persistent_matmul.py:74:25
	s_and_saveexec_b64 s[18:19], s[20:21]
	s_cbranch_execnz .LBB0_493
.LBB0_200:
	.loc	1 0 25 is_stmt 0                ; persistent_matmul.py:0:25
	s_or_b64 exec, exec, s[18:19]
	.loc	1 69 43 is_stmt 1               ; persistent_matmul.py:69:43
	s_and_b64 s[20:21], s[46:47], s[38:39]
	.loc	1 74 25                         ; persistent_matmul.py:74:25
	s_and_saveexec_b64 s[18:19], s[20:21]
	s_cbranch_execnz .LBB0_494
.LBB0_201:
	.loc	1 0 25 is_stmt 0                ; persistent_matmul.py:0:25
	s_or_b64 exec, exec, s[18:19]
	.loc	1 69 43 is_stmt 1               ; persistent_matmul.py:69:43
	s_and_b64 s[20:21], s[46:47], s[40:41]
	.loc	1 74 25                         ; persistent_matmul.py:74:25
	s_and_saveexec_b64 s[18:19], s[20:21]
	s_cbranch_execz .LBB0_203
.LBB0_202:
	.loc	1 68 56                         ; persistent_matmul.py:68:56
	v_lshl_add_u64 v[32:33], v[64:65], 1, v[34:35]
	.loc	1 74 25                         ; persistent_matmul.py:74:25
	global_store_short_d16_hi v[32:33], v133, off
.LBB0_203:                              ; %Flow208
	.loc	1 0 25 is_stmt 0                ; persistent_matmul.py:0:25
	s_or_b64 exec, exec, s[18:19]
	s_mov_b32 s81, s16
	s_branch .LBB0_205
.LBB0_204:
	s_add_i32 s81, s16, 0xfffffed0
.LBB0_205:
	.loc	1 43 59 is_stmt 1               ; persistent_matmul.py:43:59
	v_cndmask_b32_e64 v32, 0, 1, s[0:1]
	s_nop 7
	v_cndmask_b32_e64 v0, 0, v0, s[0:1]
	v_cndmask_b32_e64 v1, 0, v1, s[0:1]
	;; [unrolled: 1-line block ×32, first 2 shown]
	v_readfirstlane_b32 s77, v32
	s_cmp_eq_u32 s83, 1
	.loc	1 60 24                         ; persistent_matmul.py:60:24
	s_waitcnt lgkmcnt(0)
	s_barrier
	s_waitcnt vmcnt(0)
	ds_write_b16 v90, v102
	ds_write_b16 v90, v104 offset:2048
	ds_write_b16 v90, v106 offset:4096
	ds_write_b16 v90, v108 offset:6144
	ds_write_b16 v90, v110 offset:8192
	ds_write_b16 v90, v112 offset:10240
	ds_write_b16 v90, v114 offset:12288
	ds_write_b16 v90, v116 offset:14336
	ds_write_b16 v91, v101 offset:1024
	ds_write_b16 v91, v103 offset:3072
	ds_write_b16 v91, v105 offset:5120
	ds_write_b16 v91, v107 offset:7168
	ds_write_b16 v91, v109 offset:9216
	ds_write_b16 v91, v111 offset:11264
	ds_write_b16 v91, v113 offset:13312
	ds_write_b16 v91, v115 offset:15360
	.loc	1 61 24                         ; persistent_matmul.py:61:24
	ds_write_b16 v90, v117 offset:16384
	ds_write_b16 v90, v121 offset:20480
	;; [unrolled: 1-line block ×16, first 2 shown]
	.loc	1 43 59                         ; persistent_matmul.py:43:59
	s_cbranch_scc1 .LBB0_341
; %bb.206:                              ; %.peel.next
	s_add_i32 s79, s79, -2
	s_mov_b32 s83, s77
	s_branch .LBB0_209
.LBB0_207:                              ; %Flow204
                                        ;   in Loop: Header=BB0_209 Depth=1
	.loc	1 0 59 is_stmt 0                ; persistent_matmul.py:0:59
	s_or_b64 exec, exec, s[0:1]
.LBB0_208:                              ;   in Loop: Header=BB0_209 Depth=1
	.loc	1 43 59 is_stmt 1               ; persistent_matmul.py:43:59
	s_add_i32 s79, s79, -1
	s_nop 8
	v_cndmask_b32_e64 v0, v0, 0, s[50:51]
	v_cndmask_b32_e64 v1, v1, 0, s[50:51]
	;; [unrolled: 1-line block ×32, first 2 shown]
	s_cmp_lg_u32 s79, 0
	.loc	1 60 24                         ; persistent_matmul.py:60:24
	s_waitcnt lgkmcnt(0)
	s_barrier
	s_waitcnt vmcnt(0)
	ds_write_b16 v90, v102
	ds_write_b16 v90, v104 offset:2048
	ds_write_b16 v90, v106 offset:4096
	;; [unrolled: 1-line block ×15, first 2 shown]
	.loc	1 61 24                         ; persistent_matmul.py:61:24
	ds_write_b16 v90, v117 offset:16384
	ds_write_b16 v90, v121 offset:20480
	;; [unrolled: 1-line block ×16, first 2 shown]
	.loc	1 43 59                         ; persistent_matmul.py:43:59
	s_cbranch_scc0 .LBB0_341
.LBB0_209:                              ; =>This Inner Loop Header: Depth=1
	s_add_i32 s18, s77, 1
	s_cmp_eq_u32 s77, s84
	s_cselect_b64 s[50:51], -1, 0
	s_and_b64 s[0:1], s[50:51], exec
	s_cselect_b32 s77, 0, s18
	s_cmp_eq_u32 s77, 0
	s_cselect_b64 s[0:1], -1, 0
	s_cmp_lg_u32 s77, 0
	s_cbranch_scc1 .LBB0_211
; %bb.210:                              ;   in Loop: Header=BB0_209 Depth=1
	s_addk_i32 s75, 0x130
.Ltmp28:
	.loc	1 10 26                         ; persistent_matmul.py:10:26 @[ persistent_matmul.py:44:88 ]
	s_abs_i32 s20, s75
	v_readlane_b32 s21, v150, 2
	s_mul_hi_u32 s21, s20, s21
	s_mul_i32 s22, s21, s60
	s_ashr_i32 s18, s75, 31
	v_readlane_b32 s19, v150, 1
	s_sub_i32 s22, s20, s22
	s_xor_b32 s19, s18, s19
	s_add_i32 s23, s21, 1
	s_sub_i32 s24, s22, s60
	s_cmp_ge_u32 s22, s60
	s_cselect_b32 s21, s23, s21
	s_cselect_b32 s22, s24, s22
	s_add_i32 s23, s21, 1
	s_cmp_ge_u32 s22, s60
	s_cselect_b32 s21, s23, s21
	s_xor_b32 s21, s21, s19
	s_sub_i32 s19, s21, s19
	.loc	1 11 29                         ; persistent_matmul.py:11:29 @[ persistent_matmul.py:44:88 ]
	s_lshl_b32 s21, s19, 3
	.loc	1 12 35                         ; persistent_matmul.py:12:35 @[ persistent_matmul.py:44:88 ]
	s_sub_i32 s22, s33, s21
	.loc	1 12 48 is_stmt 0               ; persistent_matmul.py:12:48 @[ persistent_matmul.py:44:88 ]
	s_min_i32 s22, s22, 8
	.loc	1 13 37 is_stmt 1               ; persistent_matmul.py:13:37 @[ persistent_matmul.py:44:88 ]
	s_abs_i32 s23, s22
	v_cvt_f32_u32_e32 v32, s23
	s_sub_i32 s24, 0, s23
	.loc	1 14 23                         ; persistent_matmul.py:14:23 @[ persistent_matmul.py:44:88 ]
	s_mul_i32 s19, s19, s59
.Ltmp29:
	.loc	1 47 28                         ; persistent_matmul.py:47:28
	v_readlane_b32 s26, v150, 8
.Ltmp30:
	.loc	1 13 37                         ; persistent_matmul.py:13:37 @[ persistent_matmul.py:44:88 ]
	v_rcp_iflag_f32_e32 v32, v32
.Ltmp31:
	.loc	1 47 28                         ; persistent_matmul.py:47:28
	v_readlane_b32 s27, v150, 9
	v_readlane_b32 s28, v150, 10
	v_readlane_b32 s29, v150, 11
.Ltmp32:
	.loc	1 13 37                         ; persistent_matmul.py:13:37 @[ persistent_matmul.py:44:88 ]
	v_mul_f32_e32 v32, 0x4f7ffffe, v32
	v_cvt_u32_f32_e32 v32, v32
.Ltmp33:
	.loc	1 47 28                         ; persistent_matmul.py:47:28
	v_readlane_b32 s30, v150, 12
	v_readlane_b32 s31, v150, 13
	;; [unrolled: 1-line block ×3, first 2 shown]
.Ltmp34:
	.loc	1 13 37                         ; persistent_matmul.py:13:37 @[ persistent_matmul.py:44:88 ]
	v_readfirstlane_b32 s25, v32
	s_mul_i32 s24, s24, s25
	s_mul_hi_u32 s24, s25, s24
	s_add_i32 s25, s25, s24
	s_mul_hi_u32 s24, s20, s25
	s_mul_i32 s24, s24, s23
	s_sub_i32 s20, s20, s24
	s_sub_i32 s24, s20, s23
	s_cmp_ge_u32 s20, s23
	s_cselect_b32 s20, s24, s20
	s_sub_i32 s24, s20, s23
	s_cmp_ge_u32 s20, s23
	s_cselect_b32 s20, s24, s20
	s_xor_b32 s20, s20, s18
	.loc	1 14 23                         ; persistent_matmul.py:14:23 @[ persistent_matmul.py:44:88 ]
	s_sub_i32 s19, s75, s19
	.loc	1 13 37                         ; persistent_matmul.py:13:37 @[ persistent_matmul.py:44:88 ]
	s_sub_i32 s18, s20, s18
	.loc	1 13 27 is_stmt 0               ; persistent_matmul.py:13:27 @[ persistent_matmul.py:44:88 ]
	s_add_i32 s21, s21, s18
	.loc	1 14 44 is_stmt 1               ; persistent_matmul.py:14:44 @[ persistent_matmul.py:44:88 ]
	s_abs_i32 s18, s19
	s_xor_b32 s22, s19, s22
	s_mul_hi_u32 s19, s18, s25
	s_ashr_i32 s20, s22, 31
	s_mul_i32 s22, s19, s23
	s_sub_i32 s18, s18, s22
	s_add_i32 s22, s19, 1
	s_sub_i32 s24, s18, s23
	s_cmp_ge_u32 s18, s23
	s_cselect_b32 s19, s22, s19
	s_cselect_b32 s18, s24, s18
	s_add_i32 s22, s19, 1
	s_cmp_ge_u32 s18, s23
	s_cselect_b32 s18, s22, s19
	s_xor_b32 s18, s18, s20
.Ltmp35:
	.loc	1 45 26                         ; persistent_matmul.py:45:26
	s_lshl_b32 s19, s21, 7
	.loc	1 47 28                         ; persistent_matmul.py:47:28
	v_readlane_b32 s21, v150, 3
	v_readlane_b32 s22, v150, 4
	;; [unrolled: 1-line block ×8, first 2 shown]
.Ltmp36:
	.loc	1 14 44                         ; persistent_matmul.py:14:44 @[ persistent_matmul.py:44:88 ]
	s_sub_i32 s18, s18, s20
.Ltmp37:
	.loc	1 47 28                         ; persistent_matmul.py:47:28
	s_or_b32 s20, s19, s64
	s_or_b32 s21, s19, s21
	;; [unrolled: 1-line block ×16, first 2 shown]
	.loc	1 49 37                         ; persistent_matmul.py:49:37
	s_cmp_lt_i32 s20, s8
	.loc	1 48 28                         ; persistent_matmul.py:48:28
	v_lshl_or_b32 v32, s18, 7, v87
	.loc	1 49 49                         ; persistent_matmul.py:49:49
	s_cselect_b32 s18, s20, 0
	.loc	1 49 37 is_stmt 0               ; persistent_matmul.py:49:37
	s_cmp_lt_i32 s21, s8
	.loc	1 49 49                         ; persistent_matmul.py:49:49
	s_cselect_b32 s20, s21, 0
	.loc	1 49 37                         ; persistent_matmul.py:49:37
	s_cmp_lt_i32 s22, s8
	.loc	1 49 49                         ; persistent_matmul.py:49:49
	s_cselect_b32 s21, s22, 0
	.loc	1 49 37                         ; persistent_matmul.py:49:37
	;; [unrolled: 4-line block ×14, first 2 shown]
	s_cmp_lt_i32 s19, s8
	.loc	1 50 37 is_stmt 1               ; persistent_matmul.py:50:37
	v_cmp_gt_i32_e32 vcc, s9, v32
	.loc	1 49 49                         ; persistent_matmul.py:49:49
	s_cselect_b32 s19, s19, 0
	.loc	1 57 49                         ; persistent_matmul.py:57:49
	s_mul_i32 s61, s18, s11
	.loc	1 50 49                         ; persistent_matmul.py:50:49
	v_cndmask_b32_e32 v32, 0, v32, vcc
	.loc	1 58 79                         ; persistent_matmul.py:58:79
	v_readlane_b32 s18, v150, 0
	.loc	1 57 49                         ; persistent_matmul.py:57:49
	s_mul_i32 s78, s20, s11
	s_mul_i32 s80, s21, s11
	;; [unrolled: 1-line block ×15, first 2 shown]
	.loc	1 58 79                         ; persistent_matmul.py:58:79
	v_mul_lo_u32 v89, v32, s18
.LBB0_211:                              ;   in Loop: Header=BB0_209 Depth=1
	.loc	1 43 59                         ; persistent_matmul.py:43:59
	s_add_i32 s18, s83, 1
	s_and_b64 s[0:1], s[0:1], exec
	s_cselect_b32 s83, 0, s18
	.loc	1 56 26                         ; persistent_matmul.py:56:26
	s_lshl_b32 s18, s83, 6
	.loc	1 56 41 is_stmt 0               ; persistent_matmul.py:56:41
	v_or_b32_e32 v32, s18, v86
	.loc	1 60 68 is_stmt 1               ; persistent_matmul.py:60:68
	s_sub_i32 s19, s10, s18
	.loc	1 57 79                         ; persistent_matmul.py:57:79
	v_mul_lo_u32 v32, v32, s12
	.loc	1 60 64                         ; persistent_matmul.py:60:64
	v_cmp_gt_i32_e32 vcc, s19, v86
	v_mov_b32_e32 v101, 0
	v_mov_b32_e32 v102, 0
	.loc	1 60 24 is_stmt 0               ; persistent_matmul.py:60:24
	s_and_saveexec_b64 s[0:1], vcc
	s_cbranch_execz .LBB0_213
; %bb.212:                              ;   in Loop: Header=BB0_209 Depth=1
	.loc	1 0 24                          ; persistent_matmul.py:0:24
	v_add_u32_e32 v34, s61, v32
	v_ashrrev_i32_e32 v35, 31, v34
	v_lshl_add_u64 v[34:35], v[34:35], 1, s[2:3]
	.loc	1 60 24                         ; persistent_matmul.py:60:24
	global_load_ushort v102, v[34:35], off
.LBB0_213:                              ;   in Loop: Header=BB0_209 Depth=1
	.loc	1 0 24                          ; persistent_matmul.py:0:24
	s_or_b64 exec, exec, s[0:1]
	.loc	1 60 24                         ; persistent_matmul.py:60:24
	s_and_saveexec_b64 s[0:1], vcc
	s_cbranch_execz .LBB0_215
; %bb.214:                              ;   in Loop: Header=BB0_209 Depth=1
	.loc	1 57 61 is_stmt 1               ; persistent_matmul.py:57:61
	v_add_u32_e32 v34, s78, v32
	.loc	1 57 30 is_stmt 0               ; persistent_matmul.py:57:30
	v_ashrrev_i32_e32 v35, 31, v34
	v_lshl_add_u64 v[34:35], v[34:35], 1, s[2:3]
	.loc	1 60 24 is_stmt 1               ; persistent_matmul.py:60:24
	global_load_ushort v101, v[34:35], off
.LBB0_215:                              ;   in Loop: Header=BB0_209 Depth=1
	.loc	1 0 24 is_stmt 0                ; persistent_matmul.py:0:24
	s_or_b64 exec, exec, s[0:1]
	v_mov_b32_e32 v103, 0
	v_mov_b32_e32 v104, 0
	.loc	1 60 24                         ; persistent_matmul.py:60:24
	s_and_saveexec_b64 s[0:1], vcc
	s_cbranch_execz .LBB0_217
; %bb.216:                              ;   in Loop: Header=BB0_209 Depth=1
	.loc	1 57 61 is_stmt 1               ; persistent_matmul.py:57:61
	v_add_u32_e32 v34, s80, v32
	.loc	1 57 30 is_stmt 0               ; persistent_matmul.py:57:30
	v_ashrrev_i32_e32 v35, 31, v34
	v_lshl_add_u64 v[34:35], v[34:35], 1, s[2:3]
	.loc	1 60 24 is_stmt 1               ; persistent_matmul.py:60:24
	global_load_ushort v104, v[34:35], off
.LBB0_217:                              ;   in Loop: Header=BB0_209 Depth=1
	.loc	1 0 24 is_stmt 0                ; persistent_matmul.py:0:24
	s_or_b64 exec, exec, s[0:1]
	.loc	1 60 24                         ; persistent_matmul.py:60:24
	s_and_saveexec_b64 s[0:1], vcc
	s_cbranch_execz .LBB0_219
; %bb.218:                              ;   in Loop: Header=BB0_209 Depth=1
	.loc	1 57 61 is_stmt 1               ; persistent_matmul.py:57:61
	v_add_u32_e32 v34, s82, v32
	.loc	1 57 30 is_stmt 0               ; persistent_matmul.py:57:30
	v_ashrrev_i32_e32 v35, 31, v34
	v_lshl_add_u64 v[34:35], v[34:35], 1, s[2:3]
	.loc	1 60 24 is_stmt 1               ; persistent_matmul.py:60:24
	global_load_ushort v103, v[34:35], off
.LBB0_219:                              ;   in Loop: Header=BB0_209 Depth=1
	.loc	1 0 24 is_stmt 0                ; persistent_matmul.py:0:24
	s_or_b64 exec, exec, s[0:1]
	v_mov_b32_e32 v105, 0
	v_mov_b32_e32 v106, 0
	.loc	1 60 24                         ; persistent_matmul.py:60:24
	s_and_saveexec_b64 s[0:1], vcc
	s_cbranch_execz .LBB0_221
; %bb.220:                              ;   in Loop: Header=BB0_209 Depth=1
	.loc	1 57 61 is_stmt 1               ; persistent_matmul.py:57:61
	v_add_u32_e32 v34, s85, v32
	.loc	1 57 30 is_stmt 0               ; persistent_matmul.py:57:30
	v_ashrrev_i32_e32 v35, 31, v34
	v_lshl_add_u64 v[34:35], v[34:35], 1, s[2:3]
	.loc	1 60 24 is_stmt 1               ; persistent_matmul.py:60:24
	global_load_ushort v106, v[34:35], off
.LBB0_221:                              ;   in Loop: Header=BB0_209 Depth=1
	.loc	1 0 24 is_stmt 0                ; persistent_matmul.py:0:24
	;; [unrolled: 30-line block ×7, first 2 shown]
	s_or_b64 exec, exec, s[0:1]
	.loc	1 60 24                         ; persistent_matmul.py:60:24
	s_and_saveexec_b64 s[0:1], vcc
	s_cbranch_execz .LBB0_243
; %bb.242:                              ;   in Loop: Header=BB0_209 Depth=1
	.loc	1 57 61 is_stmt 1               ; persistent_matmul.py:57:61
	v_add_u32_e32 v32, s70, v32
	.loc	1 57 30 is_stmt 0               ; persistent_matmul.py:57:30
	v_ashrrev_i32_e32 v33, 31, v32
	v_lshl_add_u64 v[32:33], v[32:33], 1, s[2:3]
	.loc	1 60 24 is_stmt 1               ; persistent_matmul.py:60:24
	global_load_ushort v115, v[32:33], off
.LBB0_243:                              ;   in Loop: Header=BB0_209 Depth=1
	.loc	1 0 24 is_stmt 0                ; persistent_matmul.py:0:24
	s_or_b64 exec, exec, s[0:1]
	.loc	1 60 24                         ; persistent_matmul.py:60:24
	s_waitcnt lgkmcnt(0)
	s_barrier
	ds_read_b128 v[48:51], v94
	ds_read_b128 v[36:39], v94 offset:8192
	ds_read_b128 v[52:55], v95
	ds_read_b128 v[40:43], v95 offset:8192
	;; [unrolled: 2-line block ×4, first 2 shown]
	.loc	1 61 64 is_stmt 1               ; persistent_matmul.py:61:64
	s_cmp_ge_i32 s86, s19
	.loc	1 61 24 is_stmt 0               ; persistent_matmul.py:61:24
	s_cbranch_scc1 .LBB0_260
; %bb.244:                              ;   in Loop: Header=BB0_209 Depth=1
	.loc	1 56 41 is_stmt 1               ; persistent_matmul.py:56:41
	s_or_b32 s0, s18, s86
	.loc	1 58 48                         ; persistent_matmul.py:58:48
	s_mul_i32 s0, s0, s13
	.loc	1 58 60 is_stmt 0               ; persistent_matmul.py:58:60
	v_add_u32_e32 v64, s0, v89
	.loc	1 58 30                         ; persistent_matmul.py:58:30
	v_ashrrev_i32_e32 v65, 31, v64
	v_lshl_add_u64 v[64:65], v[64:65], 1, s[4:5]
	.loc	1 61 24 is_stmt 1               ; persistent_matmul.py:61:24
	global_load_ushort v117, v[64:65], off
	.loc	1 61 64 is_stmt 0               ; persistent_matmul.py:61:64
	s_cmp_ge_i32 s14, s19
	.loc	1 61 24                         ; persistent_matmul.py:61:24
	s_cbranch_scc0 .LBB0_261
.LBB0_245:                              ;   in Loop: Header=BB0_209 Depth=1
	.loc	1 0 24                          ; persistent_matmul.py:0:24
	v_mov_b32_e32 v118, 0
	.loc	1 61 64                         ; persistent_matmul.py:61:64
	s_cmp_ge_i32 s90, s19
	.loc	1 61 24                         ; persistent_matmul.py:61:24
	s_cbranch_scc0 .LBB0_262
.LBB0_246:                              ;   in Loop: Header=BB0_209 Depth=1
	.loc	1 0 24                          ; persistent_matmul.py:0:24
	v_mov_b32_e32 v119, 0
	.loc	1 61 64                         ; persistent_matmul.py:61:64
	s_cmp_ge_i32 s92, s19
	.loc	1 61 24                         ; persistent_matmul.py:61:24
	s_cbranch_scc0 .LBB0_263
.LBB0_247:                              ;   in Loop: Header=BB0_209 Depth=1
	.loc	1 0 24                          ; persistent_matmul.py:0:24
	v_mov_b32_e32 v120, 0
	.loc	1 61 64                         ; persistent_matmul.py:61:64
	s_cmp_ge_i32 s94, s19
	.loc	1 61 24                         ; persistent_matmul.py:61:24
	s_cbranch_scc0 .LBB0_264
.LBB0_248:                              ;   in Loop: Header=BB0_209 Depth=1
	.loc	1 0 24                          ; persistent_matmul.py:0:24
	v_mov_b32_e32 v121, 0
	.loc	1 61 64                         ; persistent_matmul.py:61:64
	s_cmp_ge_i32 s96, s19
	.loc	1 61 24                         ; persistent_matmul.py:61:24
	s_cbranch_scc0 .LBB0_265
.LBB0_249:                              ;   in Loop: Header=BB0_209 Depth=1
	.loc	1 0 24                          ; persistent_matmul.py:0:24
	v_mov_b32_e32 v122, 0
	.loc	1 61 64                         ; persistent_matmul.py:61:64
	s_cmp_ge_i32 s98, s19
	.loc	1 61 24                         ; persistent_matmul.py:61:24
	s_cbranch_scc0 .LBB0_266
.LBB0_250:                              ;   in Loop: Header=BB0_209 Depth=1
	.loc	1 0 24                          ; persistent_matmul.py:0:24
	v_mov_b32_e32 v123, 0
	.loc	1 61 64                         ; persistent_matmul.py:61:64
	s_cmp_ge_i32 s52, s19
	.loc	1 61 24                         ; persistent_matmul.py:61:24
	s_cbranch_scc0 .LBB0_267
.LBB0_251:                              ;   in Loop: Header=BB0_209 Depth=1
	.loc	1 0 24                          ; persistent_matmul.py:0:24
	v_mov_b32_e32 v124, 0
	.loc	1 61 64                         ; persistent_matmul.py:61:64
	s_cmp_ge_i32 s63, s19
	.loc	1 61 24                         ; persistent_matmul.py:61:24
	s_cbranch_scc0 .LBB0_268
.LBB0_252:                              ;   in Loop: Header=BB0_209 Depth=1
	.loc	1 0 24                          ; persistent_matmul.py:0:24
	v_mov_b32_e32 v125, 0
	.loc	1 61 64                         ; persistent_matmul.py:61:64
	s_cmp_ge_i32 s65, s19
	.loc	1 61 24                         ; persistent_matmul.py:61:24
	s_cbranch_scc0 .LBB0_269
.LBB0_253:                              ;   in Loop: Header=BB0_209 Depth=1
	.loc	1 0 24                          ; persistent_matmul.py:0:24
	v_mov_b32_e32 v126, 0
	.loc	1 61 64                         ; persistent_matmul.py:61:64
	s_cmp_ge_i32 s67, s19
	.loc	1 61 24                         ; persistent_matmul.py:61:24
	s_cbranch_scc0 .LBB0_270
.LBB0_254:                              ;   in Loop: Header=BB0_209 Depth=1
	.loc	1 0 24                          ; persistent_matmul.py:0:24
	v_mov_b32_e32 v127, 0
	.loc	1 61 64                         ; persistent_matmul.py:61:64
	s_cmp_ge_i32 s69, s19
	.loc	1 61 24                         ; persistent_matmul.py:61:24
	s_cbranch_scc0 .LBB0_271
.LBB0_255:                              ;   in Loop: Header=BB0_209 Depth=1
	.loc	1 0 24                          ; persistent_matmul.py:0:24
	v_mov_b32_e32 v128, 0
	.loc	1 61 64                         ; persistent_matmul.py:61:64
	s_cmp_ge_i32 s71, s19
	.loc	1 61 24                         ; persistent_matmul.py:61:24
	s_cbranch_scc0 .LBB0_272
.LBB0_256:                              ;   in Loop: Header=BB0_209 Depth=1
	.loc	1 0 24                          ; persistent_matmul.py:0:24
	v_mov_b32_e32 v129, 0
	.loc	1 61 64                         ; persistent_matmul.py:61:64
	s_cmp_ge_i32 s72, s19
	.loc	1 61 24                         ; persistent_matmul.py:61:24
	s_cbranch_scc0 .LBB0_273
.LBB0_257:                              ;   in Loop: Header=BB0_209 Depth=1
	.loc	1 0 24                          ; persistent_matmul.py:0:24
	v_mov_b32_e32 v130, 0
	.loc	1 61 64                         ; persistent_matmul.py:61:64
	s_cmp_ge_i32 s73, s19
	.loc	1 61 24                         ; persistent_matmul.py:61:24
	s_cbranch_scc0 .LBB0_274
.LBB0_258:                              ;   in Loop: Header=BB0_209 Depth=1
	.loc	1 0 24                          ; persistent_matmul.py:0:24
	v_mov_b32_e32 v131, 0
	.loc	1 61 64                         ; persistent_matmul.py:61:64
	s_cmp_ge_i32 s74, s19
	.loc	1 61 24                         ; persistent_matmul.py:61:24
	s_cbranch_scc0 .LBB0_275
.LBB0_259:                              ;   in Loop: Header=BB0_209 Depth=1
	.loc	1 0 24                          ; persistent_matmul.py:0:24
	v_mov_b32_e32 v132, 0
	.loc	1 61 24                         ; persistent_matmul.py:61:24
	s_branch .LBB0_276
.LBB0_260:                              ;   in Loop: Header=BB0_209 Depth=1
	.loc	1 0 24                          ; persistent_matmul.py:0:24
	v_mov_b32_e32 v117, 0
	.loc	1 61 64                         ; persistent_matmul.py:61:64
	s_cmp_ge_i32 s14, s19
	.loc	1 61 24                         ; persistent_matmul.py:61:24
	s_cbranch_scc1 .LBB0_245
.LBB0_261:                              ;   in Loop: Header=BB0_209 Depth=1
	.loc	1 56 41 is_stmt 1               ; persistent_matmul.py:56:41
	s_or_b32 s0, s18, s14
	.loc	1 58 48                         ; persistent_matmul.py:58:48
	s_mul_i32 s0, s0, s13
	.loc	1 58 60 is_stmt 0               ; persistent_matmul.py:58:60
	v_add_u32_e32 v64, s0, v89
	.loc	1 58 30                         ; persistent_matmul.py:58:30
	v_ashrrev_i32_e32 v65, 31, v64
	v_lshl_add_u64 v[64:65], v[64:65], 1, s[4:5]
	.loc	1 61 24 is_stmt 1               ; persistent_matmul.py:61:24
	global_load_ushort v118, v[64:65], off
	.loc	1 61 64 is_stmt 0               ; persistent_matmul.py:61:64
	s_cmp_ge_i32 s90, s19
	.loc	1 61 24                         ; persistent_matmul.py:61:24
	s_cbranch_scc1 .LBB0_246
.LBB0_262:                              ;   in Loop: Header=BB0_209 Depth=1
	.loc	1 56 41 is_stmt 1               ; persistent_matmul.py:56:41
	s_or_b32 s0, s18, s90
	.loc	1 58 48                         ; persistent_matmul.py:58:48
	s_mul_i32 s0, s0, s13
	.loc	1 58 60 is_stmt 0               ; persistent_matmul.py:58:60
	v_add_u32_e32 v64, s0, v89
	.loc	1 58 30                         ; persistent_matmul.py:58:30
	v_ashrrev_i32_e32 v65, 31, v64
	v_lshl_add_u64 v[64:65], v[64:65], 1, s[4:5]
	.loc	1 61 24 is_stmt 1               ; persistent_matmul.py:61:24
	global_load_ushort v119, v[64:65], off
	.loc	1 61 64 is_stmt 0               ; persistent_matmul.py:61:64
	s_cmp_ge_i32 s92, s19
	.loc	1 61 24                         ; persistent_matmul.py:61:24
	s_cbranch_scc1 .LBB0_247
.LBB0_263:                              ;   in Loop: Header=BB0_209 Depth=1
	.loc	1 56 41 is_stmt 1               ; persistent_matmul.py:56:41
	s_or_b32 s0, s18, s92
	.loc	1 58 48                         ; persistent_matmul.py:58:48
	s_mul_i32 s0, s0, s13
	.loc	1 58 60 is_stmt 0               ; persistent_matmul.py:58:60
	v_add_u32_e32 v64, s0, v89
	.loc	1 58 30                         ; persistent_matmul.py:58:30
	v_ashrrev_i32_e32 v65, 31, v64
	v_lshl_add_u64 v[64:65], v[64:65], 1, s[4:5]
	.loc	1 61 24 is_stmt 1               ; persistent_matmul.py:61:24
	global_load_ushort v120, v[64:65], off
	.loc	1 61 64 is_stmt 0               ; persistent_matmul.py:61:64
	s_cmp_ge_i32 s94, s19
	.loc	1 61 24                         ; persistent_matmul.py:61:24
	s_cbranch_scc1 .LBB0_248
.LBB0_264:                              ;   in Loop: Header=BB0_209 Depth=1
	.loc	1 56 41 is_stmt 1               ; persistent_matmul.py:56:41
	s_or_b32 s0, s18, s94
	.loc	1 58 48                         ; persistent_matmul.py:58:48
	s_mul_i32 s0, s0, s13
	.loc	1 58 60 is_stmt 0               ; persistent_matmul.py:58:60
	v_add_u32_e32 v64, s0, v89
	.loc	1 58 30                         ; persistent_matmul.py:58:30
	v_ashrrev_i32_e32 v65, 31, v64
	v_lshl_add_u64 v[64:65], v[64:65], 1, s[4:5]
	.loc	1 61 24 is_stmt 1               ; persistent_matmul.py:61:24
	global_load_ushort v121, v[64:65], off
	.loc	1 61 64 is_stmt 0               ; persistent_matmul.py:61:64
	s_cmp_ge_i32 s96, s19
	.loc	1 61 24                         ; persistent_matmul.py:61:24
	s_cbranch_scc1 .LBB0_249
.LBB0_265:                              ;   in Loop: Header=BB0_209 Depth=1
	.loc	1 56 41 is_stmt 1               ; persistent_matmul.py:56:41
	s_or_b32 s0, s18, s96
	.loc	1 58 48                         ; persistent_matmul.py:58:48
	s_mul_i32 s0, s0, s13
	.loc	1 58 60 is_stmt 0               ; persistent_matmul.py:58:60
	v_add_u32_e32 v64, s0, v89
	.loc	1 58 30                         ; persistent_matmul.py:58:30
	v_ashrrev_i32_e32 v65, 31, v64
	v_lshl_add_u64 v[64:65], v[64:65], 1, s[4:5]
	.loc	1 61 24 is_stmt 1               ; persistent_matmul.py:61:24
	global_load_ushort v122, v[64:65], off
	.loc	1 61 64 is_stmt 0               ; persistent_matmul.py:61:64
	s_cmp_ge_i32 s98, s19
	.loc	1 61 24                         ; persistent_matmul.py:61:24
	s_cbranch_scc1 .LBB0_250
.LBB0_266:                              ;   in Loop: Header=BB0_209 Depth=1
	.loc	1 56 41 is_stmt 1               ; persistent_matmul.py:56:41
	s_or_b32 s0, s18, s98
	.loc	1 58 48                         ; persistent_matmul.py:58:48
	s_mul_i32 s0, s0, s13
	.loc	1 58 60 is_stmt 0               ; persistent_matmul.py:58:60
	v_add_u32_e32 v64, s0, v89
	.loc	1 58 30                         ; persistent_matmul.py:58:30
	v_ashrrev_i32_e32 v65, 31, v64
	v_lshl_add_u64 v[64:65], v[64:65], 1, s[4:5]
	.loc	1 61 24 is_stmt 1               ; persistent_matmul.py:61:24
	global_load_ushort v123, v[64:65], off
	.loc	1 61 64 is_stmt 0               ; persistent_matmul.py:61:64
	s_cmp_ge_i32 s52, s19
	.loc	1 61 24                         ; persistent_matmul.py:61:24
	s_cbranch_scc1 .LBB0_251
.LBB0_267:                              ;   in Loop: Header=BB0_209 Depth=1
	.loc	1 56 41 is_stmt 1               ; persistent_matmul.py:56:41
	s_or_b32 s0, s18, s52
	.loc	1 58 48                         ; persistent_matmul.py:58:48
	s_mul_i32 s0, s0, s13
	.loc	1 58 60 is_stmt 0               ; persistent_matmul.py:58:60
	v_add_u32_e32 v64, s0, v89
	.loc	1 58 30                         ; persistent_matmul.py:58:30
	v_ashrrev_i32_e32 v65, 31, v64
	v_lshl_add_u64 v[64:65], v[64:65], 1, s[4:5]
	.loc	1 61 24 is_stmt 1               ; persistent_matmul.py:61:24
	global_load_ushort v124, v[64:65], off
	.loc	1 61 64 is_stmt 0               ; persistent_matmul.py:61:64
	s_cmp_ge_i32 s63, s19
	.loc	1 61 24                         ; persistent_matmul.py:61:24
	s_cbranch_scc1 .LBB0_252
.LBB0_268:                              ;   in Loop: Header=BB0_209 Depth=1
	.loc	1 56 41 is_stmt 1               ; persistent_matmul.py:56:41
	s_or_b32 s0, s18, s63
	.loc	1 58 48                         ; persistent_matmul.py:58:48
	s_mul_i32 s0, s0, s13
	.loc	1 58 60 is_stmt 0               ; persistent_matmul.py:58:60
	v_add_u32_e32 v64, s0, v89
	.loc	1 58 30                         ; persistent_matmul.py:58:30
	v_ashrrev_i32_e32 v65, 31, v64
	v_lshl_add_u64 v[64:65], v[64:65], 1, s[4:5]
	.loc	1 61 24 is_stmt 1               ; persistent_matmul.py:61:24
	global_load_ushort v125, v[64:65], off
	.loc	1 61 64 is_stmt 0               ; persistent_matmul.py:61:64
	s_cmp_ge_i32 s65, s19
	.loc	1 61 24                         ; persistent_matmul.py:61:24
	s_cbranch_scc1 .LBB0_253
.LBB0_269:                              ;   in Loop: Header=BB0_209 Depth=1
	.loc	1 56 41 is_stmt 1               ; persistent_matmul.py:56:41
	s_or_b32 s0, s18, s65
	.loc	1 58 48                         ; persistent_matmul.py:58:48
	s_mul_i32 s0, s0, s13
	.loc	1 58 60 is_stmt 0               ; persistent_matmul.py:58:60
	v_add_u32_e32 v64, s0, v89
	.loc	1 58 30                         ; persistent_matmul.py:58:30
	v_ashrrev_i32_e32 v65, 31, v64
	v_lshl_add_u64 v[64:65], v[64:65], 1, s[4:5]
	.loc	1 61 24 is_stmt 1               ; persistent_matmul.py:61:24
	global_load_ushort v126, v[64:65], off
	.loc	1 61 64 is_stmt 0               ; persistent_matmul.py:61:64
	s_cmp_ge_i32 s67, s19
	.loc	1 61 24                         ; persistent_matmul.py:61:24
	s_cbranch_scc1 .LBB0_254
.LBB0_270:                              ;   in Loop: Header=BB0_209 Depth=1
	.loc	1 56 41 is_stmt 1               ; persistent_matmul.py:56:41
	s_or_b32 s0, s18, s67
	.loc	1 58 48                         ; persistent_matmul.py:58:48
	s_mul_i32 s0, s0, s13
	.loc	1 58 60 is_stmt 0               ; persistent_matmul.py:58:60
	v_add_u32_e32 v64, s0, v89
	.loc	1 58 30                         ; persistent_matmul.py:58:30
	v_ashrrev_i32_e32 v65, 31, v64
	v_lshl_add_u64 v[64:65], v[64:65], 1, s[4:5]
	.loc	1 61 24 is_stmt 1               ; persistent_matmul.py:61:24
	global_load_ushort v127, v[64:65], off
	.loc	1 61 64 is_stmt 0               ; persistent_matmul.py:61:64
	s_cmp_ge_i32 s69, s19
	.loc	1 61 24                         ; persistent_matmul.py:61:24
	s_cbranch_scc1 .LBB0_255
.LBB0_271:                              ;   in Loop: Header=BB0_209 Depth=1
	.loc	1 56 41 is_stmt 1               ; persistent_matmul.py:56:41
	s_or_b32 s0, s18, s69
	.loc	1 58 48                         ; persistent_matmul.py:58:48
	s_mul_i32 s0, s0, s13
	.loc	1 58 60 is_stmt 0               ; persistent_matmul.py:58:60
	v_add_u32_e32 v64, s0, v89
	.loc	1 58 30                         ; persistent_matmul.py:58:30
	v_ashrrev_i32_e32 v65, 31, v64
	v_lshl_add_u64 v[64:65], v[64:65], 1, s[4:5]
	.loc	1 61 24 is_stmt 1               ; persistent_matmul.py:61:24
	global_load_ushort v128, v[64:65], off
	.loc	1 61 64 is_stmt 0               ; persistent_matmul.py:61:64
	s_cmp_ge_i32 s71, s19
	.loc	1 61 24                         ; persistent_matmul.py:61:24
	s_cbranch_scc1 .LBB0_256
.LBB0_272:                              ;   in Loop: Header=BB0_209 Depth=1
	.loc	1 56 41 is_stmt 1               ; persistent_matmul.py:56:41
	s_or_b32 s0, s18, s71
	.loc	1 58 48                         ; persistent_matmul.py:58:48
	s_mul_i32 s0, s0, s13
	.loc	1 58 60 is_stmt 0               ; persistent_matmul.py:58:60
	v_add_u32_e32 v64, s0, v89
	.loc	1 58 30                         ; persistent_matmul.py:58:30
	v_ashrrev_i32_e32 v65, 31, v64
	v_lshl_add_u64 v[64:65], v[64:65], 1, s[4:5]
	.loc	1 61 24 is_stmt 1               ; persistent_matmul.py:61:24
	global_load_ushort v129, v[64:65], off
	.loc	1 61 64 is_stmt 0               ; persistent_matmul.py:61:64
	s_cmp_ge_i32 s72, s19
	.loc	1 61 24                         ; persistent_matmul.py:61:24
	s_cbranch_scc1 .LBB0_257
.LBB0_273:                              ;   in Loop: Header=BB0_209 Depth=1
	.loc	1 56 41 is_stmt 1               ; persistent_matmul.py:56:41
	s_or_b32 s0, s18, s72
	.loc	1 58 48                         ; persistent_matmul.py:58:48
	s_mul_i32 s0, s0, s13
	.loc	1 58 60 is_stmt 0               ; persistent_matmul.py:58:60
	v_add_u32_e32 v64, s0, v89
	.loc	1 58 30                         ; persistent_matmul.py:58:30
	v_ashrrev_i32_e32 v65, 31, v64
	v_lshl_add_u64 v[64:65], v[64:65], 1, s[4:5]
	.loc	1 61 24 is_stmt 1               ; persistent_matmul.py:61:24
	global_load_ushort v130, v[64:65], off
	.loc	1 61 64 is_stmt 0               ; persistent_matmul.py:61:64
	s_cmp_ge_i32 s73, s19
	.loc	1 61 24                         ; persistent_matmul.py:61:24
	s_cbranch_scc1 .LBB0_258
.LBB0_274:                              ;   in Loop: Header=BB0_209 Depth=1
	.loc	1 56 41 is_stmt 1               ; persistent_matmul.py:56:41
	s_or_b32 s0, s18, s73
	.loc	1 58 48                         ; persistent_matmul.py:58:48
	s_mul_i32 s0, s0, s13
	.loc	1 58 60 is_stmt 0               ; persistent_matmul.py:58:60
	v_add_u32_e32 v64, s0, v89
	.loc	1 58 30                         ; persistent_matmul.py:58:30
	v_ashrrev_i32_e32 v65, 31, v64
	v_lshl_add_u64 v[64:65], v[64:65], 1, s[4:5]
	.loc	1 61 24 is_stmt 1               ; persistent_matmul.py:61:24
	global_load_ushort v131, v[64:65], off
	.loc	1 61 64 is_stmt 0               ; persistent_matmul.py:61:64
	s_cmp_ge_i32 s74, s19
	.loc	1 61 24                         ; persistent_matmul.py:61:24
	s_cbranch_scc1 .LBB0_259
.LBB0_275:                              ;   in Loop: Header=BB0_209 Depth=1
	.loc	1 56 41 is_stmt 1               ; persistent_matmul.py:56:41
	s_or_b32 s0, s18, s74
	.loc	1 58 48                         ; persistent_matmul.py:58:48
	s_mul_i32 s0, s0, s13
	.loc	1 58 60 is_stmt 0               ; persistent_matmul.py:58:60
	v_add_u32_e32 v64, s0, v89
	.loc	1 58 30                         ; persistent_matmul.py:58:30
	v_ashrrev_i32_e32 v65, 31, v64
	v_lshl_add_u64 v[64:65], v[64:65], 1, s[4:5]
	.loc	1 61 24 is_stmt 1               ; persistent_matmul.py:61:24
	global_load_ushort v132, v[64:65], off
.LBB0_276:                              ;   in Loop: Header=BB0_209 Depth=1
	ds_read_b64_tr_b16 v[136:137], v100 offset:17408
	ds_read_b64_tr_b16 v[134:135], v99 offset:16384
	;; [unrolled: 1-line block ×8, first 2 shown]
	.loc	1 62 39                         ; persistent_matmul.py:62:39
	s_waitcnt lgkmcnt(6)
	v_mfma_f32_32x32x16_f16 v[0:15], v[134:137], v[48:51], v[0:15]
	.loc	1 43 59                         ; persistent_matmul.py:43:59
	s_andn2_b64 vcc, exec, s[50:51]
	.loc	1 62 39                         ; persistent_matmul.py:62:39
	v_mfma_f32_32x32x16_f16 v[16:31], v[134:137], v[36:39], v[16:31]
	s_waitcnt lgkmcnt(2)
	v_mfma_f32_32x32x16_f16 v[0:15], v[138:141], v[52:55], v[0:15]
	v_mfma_f32_32x32x16_f16 v[16:31], v[138:141], v[40:43], v[16:31]
	s_waitcnt lgkmcnt(1)
	v_mfma_f32_32x32x16_f16 v[0:15], v[142:145], v[56:59], v[0:15]
	;; [unrolled: 3-line block ×3, first 2 shown]
	v_mfma_f32_32x32x16_f16 v[16:31], v[146:149], v[32:35], v[16:31]
	.loc	1 43 59                         ; persistent_matmul.py:43:59
	s_cbranch_vccnz .LBB0_208
; %bb.277:                              ;   in Loop: Header=BB0_209 Depth=1
	.loc	1 64 21                         ; persistent_matmul.py:64:21
	s_addk_i32 s81, 0x130
.Ltmp38:
	.loc	1 10 26                         ; persistent_matmul.py:10:26 @[ persistent_matmul.py:65:90 ]
	s_abs_i32 s18, s81
	v_readlane_b32 s19, v150, 2
	s_mul_hi_u32 s19, s18, s19
	s_mul_i32 s20, s19, s60
	s_ashr_i32 s0, s81, 31
	v_readlane_b32 s1, v150, 1
	s_sub_i32 s20, s18, s20
	s_xor_b32 s1, s0, s1
	s_add_i32 s21, s19, 1
	s_sub_i32 s22, s20, s60
	s_cmp_ge_u32 s20, s60
	s_cselect_b32 s19, s21, s19
	s_cselect_b32 s20, s22, s20
	s_add_i32 s21, s19, 1
	s_cmp_ge_u32 s20, s60
	s_cselect_b32 s19, s21, s19
	s_xor_b32 s19, s19, s1
	s_sub_i32 s1, s19, s1
	.loc	1 11 29                         ; persistent_matmul.py:11:29 @[ persistent_matmul.py:65:90 ]
	s_lshl_b32 s19, s1, 3
	.loc	1 12 35                         ; persistent_matmul.py:12:35 @[ persistent_matmul.py:65:90 ]
	s_sub_i32 s20, s33, s19
	.loc	1 12 48 is_stmt 0               ; persistent_matmul.py:12:48 @[ persistent_matmul.py:65:90 ]
	s_min_i32 s20, s20, 8
	.loc	1 13 37 is_stmt 1               ; persistent_matmul.py:13:37 @[ persistent_matmul.py:65:90 ]
	s_abs_i32 s21, s20
	v_cvt_f32_u32_e32 v32, s21
	s_sub_i32 s22, 0, s21
	.loc	1 14 23                         ; persistent_matmul.py:14:23 @[ persistent_matmul.py:65:90 ]
	s_mul_i32 s1, s1, s59
.Ltmp39:
	.loc	1 73 31                         ; persistent_matmul.py:73:31
	v_cvt_pk_f16_f32 v38, v0, v1
.Ltmp40:
	.loc	1 13 37                         ; persistent_matmul.py:13:37 @[ persistent_matmul.py:65:90 ]
	v_rcp_iflag_f32_e32 v32, v32
.Ltmp41:
	.loc	1 73 31                         ; persistent_matmul.py:73:31
	v_cvt_pk_f16_f32 v42, v2, v3
	v_cvt_pk_f16_f32 v46, v4, v5
	;; [unrolled: 1-line block ×3, first 2 shown]
.Ltmp42:
	.loc	1 13 37                         ; persistent_matmul.py:13:37 @[ persistent_matmul.py:65:90 ]
	v_mul_f32_e32 v32, 0x4f7ffffe, v32
	v_cvt_u32_f32_e32 v32, v32
.Ltmp43:
	.loc	1 73 31                         ; persistent_matmul.py:73:31
	v_cvt_pk_f16_f32 v54, v8, v9
	v_cvt_pk_f16_f32 v58, v10, v11
	;; [unrolled: 1-line block ×3, first 2 shown]
.Ltmp44:
	.loc	1 13 37                         ; persistent_matmul.py:13:37 @[ persistent_matmul.py:65:90 ]
	v_readfirstlane_b32 s23, v32
	s_mul_i32 s22, s22, s23
	s_mul_hi_u32 s22, s23, s22
	s_add_i32 s23, s23, s22
	s_mul_hi_u32 s22, s18, s23
	s_mul_i32 s22, s22, s21
	s_sub_i32 s18, s18, s22
	s_sub_i32 s22, s18, s21
	s_cmp_ge_u32 s18, s21
	s_cselect_b32 s18, s22, s18
	s_sub_i32 s22, s18, s21
	s_cmp_ge_u32 s18, s21
	s_cselect_b32 s18, s22, s18
	s_xor_b32 s18, s18, s0
	.loc	1 14 23                         ; persistent_matmul.py:14:23 @[ persistent_matmul.py:65:90 ]
	s_sub_i32 s1, s81, s1
	.loc	1 13 37                         ; persistent_matmul.py:13:37 @[ persistent_matmul.py:65:90 ]
	s_sub_i32 s0, s18, s0
	.loc	1 13 27 is_stmt 0               ; persistent_matmul.py:13:27 @[ persistent_matmul.py:65:90 ]
	s_add_i32 s19, s19, s0
	.loc	1 14 44 is_stmt 1               ; persistent_matmul.py:14:44 @[ persistent_matmul.py:65:90 ]
	s_abs_i32 s0, s1
	s_xor_b32 s20, s1, s20
	s_mul_hi_u32 s1, s0, s23
	s_ashr_i32 s18, s20, 31
	s_mul_i32 s20, s1, s21
	s_sub_i32 s0, s0, s20
	s_add_i32 s20, s1, 1
	s_sub_i32 s22, s0, s21
	s_cmp_ge_u32 s0, s21
	s_cselect_b32 s1, s20, s1
	s_cselect_b32 s0, s22, s0
	s_add_i32 s20, s1, 1
	s_cmp_ge_u32 s0, s21
	s_cselect_b32 s0, s20, s1
	s_xor_b32 s0, s0, s18
.Ltmp45:
	.loc	1 66 26                         ; persistent_matmul.py:66:26
	s_lshl_b32 s56, s19, 7
.Ltmp46:
	.loc	1 14 44                         ; persistent_matmul.py:14:44 @[ persistent_matmul.py:65:90 ]
	s_sub_i32 s0, s0, s18
.Ltmp47:
	.loc	1 66 41                         ; persistent_matmul.py:66:41
	v_or_b32_e32 v36, s56, v66
	.loc	1 67 26                         ; persistent_matmul.py:67:26
	s_lshl_b32 s57, s0, 7
	.loc	1 68 37                         ; persistent_matmul.py:68:37
	v_mul_lo_u32 v32, v36, s15
	.loc	1 67 41                         ; persistent_matmul.py:67:41
	v_or_b32_e32 v37, s57, v68
	.loc	1 68 25                         ; persistent_matmul.py:68:25
	v_ashrrev_i32_e32 v33, 31, v32
	v_lshl_add_u64 v[34:35], v[32:33], 1, s[6:7]
	.loc	1 68 68 is_stmt 0               ; persistent_matmul.py:68:68
	v_mul_lo_u32 v32, v37, s17
	.loc	1 69 37 is_stmt 1               ; persistent_matmul.py:69:37
	v_cmp_gt_i32_e64 s[0:1], s8, v36
	.loc	1 69 62 is_stmt 0               ; persistent_matmul.py:69:62
	v_cmp_gt_i32_e32 vcc, s9, v37
	.loc	1 73 31 is_stmt 1               ; persistent_matmul.py:73:31
	v_cvt_pk_f16_f32 v141, v14, v15
	v_cvt_pk_f16_f32 v140, v16, v17
	;; [unrolled: 1-line block ×9, first 2 shown]
	.loc	1 68 56                         ; persistent_matmul.py:68:56
	v_ashrrev_i32_e32 v33, 31, v32
	.loc	1 69 43                         ; persistent_matmul.py:69:43
	s_and_b64 s[20:21], s[0:1], vcc
	.loc	1 73 31                         ; persistent_matmul.py:73:31
	v_permlane32_swap_b32_e32 v38, v46
	v_permlane32_swap_b32_e32 v42, v50
	;; [unrolled: 1-line block ×8, first 2 shown]
	.loc	1 74 25                         ; persistent_matmul.py:74:25
	s_and_saveexec_b64 s[18:19], s[20:21]
	s_cbranch_execz .LBB0_279
; %bb.278:                              ;   in Loop: Header=BB0_209 Depth=1
	.loc	1 0 25 is_stmt 0                ; persistent_matmul.py:0:25
	v_lshl_add_u64 v[36:37], v[32:33], 1, v[34:35]
	.loc	1 74 25                         ; persistent_matmul.py:74:25
	global_store_short v[36:37], v38, off
.LBB0_279:                              ;   in Loop: Header=BB0_209 Depth=1
	.loc	1 0 25                          ; persistent_matmul.py:0:25
	s_or_b64 exec, exec, s[18:19]
	.loc	1 67 41 is_stmt 1               ; persistent_matmul.py:67:41
	v_or_b32_e32 v39, s57, v69
	.loc	1 68 68                         ; persistent_matmul.py:68:68
	v_mul_lo_u32 v36, v39, s17
	.loc	1 69 62                         ; persistent_matmul.py:69:62
	v_cmp_gt_i32_e64 s[44:45], s9, v39
	.loc	1 68 56                         ; persistent_matmul.py:68:56
	v_ashrrev_i32_e32 v37, 31, v36
	.loc	1 69 43                         ; persistent_matmul.py:69:43
	s_and_b64 s[20:21], s[0:1], s[44:45]
	.loc	1 74 25                         ; persistent_matmul.py:74:25
	s_and_saveexec_b64 s[18:19], s[20:21]
	s_cbranch_execz .LBB0_281
; %bb.280:                              ;   in Loop: Header=BB0_209 Depth=1
	.loc	1 68 56                         ; persistent_matmul.py:68:56
	v_lshl_add_u64 v[40:41], v[36:37], 1, v[34:35]
	.loc	1 74 25                         ; persistent_matmul.py:74:25
	global_store_short_d16_hi v[40:41], v38, off
.LBB0_281:                              ;   in Loop: Header=BB0_209 Depth=1
	.loc	1 0 25 is_stmt 0                ; persistent_matmul.py:0:25
	s_or_b64 exec, exec, s[18:19]
	.loc	1 67 41 is_stmt 1               ; persistent_matmul.py:67:41
	v_or_b32_e32 v40, s57, v70
	.loc	1 68 68                         ; persistent_matmul.py:68:68
	v_mul_lo_u32 v38, v40, s17
	.loc	1 69 62                         ; persistent_matmul.py:69:62
	v_cmp_gt_i32_e64 s[48:49], s9, v40
	.loc	1 68 56                         ; persistent_matmul.py:68:56
	v_ashrrev_i32_e32 v39, 31, v38
	.loc	1 69 43                         ; persistent_matmul.py:69:43
	s_and_b64 s[20:21], s[0:1], s[48:49]
	.loc	1 74 25                         ; persistent_matmul.py:74:25
	s_and_saveexec_b64 s[18:19], s[20:21]
	s_cbranch_execz .LBB0_283
; %bb.282:                              ;   in Loop: Header=BB0_209 Depth=1
	.loc	1 68 56                         ; persistent_matmul.py:68:56
	v_lshl_add_u64 v[40:41], v[38:39], 1, v[34:35]
	.loc	1 74 25                         ; persistent_matmul.py:74:25
	global_store_short v[40:41], v42, off
.LBB0_283:                              ;   in Loop: Header=BB0_209 Depth=1
	.loc	1 0 25 is_stmt 0                ; persistent_matmul.py:0:25
	s_or_b64 exec, exec, s[18:19]
	.loc	1 67 41 is_stmt 1               ; persistent_matmul.py:67:41
	v_or_b32_e32 v43, s57, v71
	.loc	1 68 68                         ; persistent_matmul.py:68:68
	v_mul_lo_u32 v40, v43, s17
	.loc	1 69 62                         ; persistent_matmul.py:69:62
	v_cmp_gt_i32_e64 s[46:47], s9, v43
	.loc	1 68 56                         ; persistent_matmul.py:68:56
	v_ashrrev_i32_e32 v41, 31, v40
	.loc	1 69 43                         ; persistent_matmul.py:69:43
	s_and_b64 s[20:21], s[0:1], s[46:47]
	.loc	1 74 25                         ; persistent_matmul.py:74:25
	s_and_saveexec_b64 s[18:19], s[20:21]
	s_cbranch_execz .LBB0_285
; %bb.284:                              ;   in Loop: Header=BB0_209 Depth=1
	.loc	1 68 56                         ; persistent_matmul.py:68:56
	v_lshl_add_u64 v[44:45], v[40:41], 1, v[34:35]
	.loc	1 74 25                         ; persistent_matmul.py:74:25
	global_store_short_d16_hi v[44:45], v42, off
.LBB0_285:                              ;   in Loop: Header=BB0_209 Depth=1
	.loc	1 0 25 is_stmt 0                ; persistent_matmul.py:0:25
	s_or_b64 exec, exec, s[18:19]
	.loc	1 67 41 is_stmt 1               ; persistent_matmul.py:67:41
	v_or_b32_e32 v44, s57, v72
	.loc	1 68 68                         ; persistent_matmul.py:68:68
	v_mul_lo_u32 v42, v44, s17
	.loc	1 69 62                         ; persistent_matmul.py:69:62
	v_cmp_gt_i32_e64 s[42:43], s9, v44
	.loc	1 68 56                         ; persistent_matmul.py:68:56
	v_ashrrev_i32_e32 v43, 31, v42
	.loc	1 69 43                         ; persistent_matmul.py:69:43
	s_and_b64 s[20:21], s[0:1], s[42:43]
	.loc	1 74 25                         ; persistent_matmul.py:74:25
	s_and_saveexec_b64 s[18:19], s[20:21]
	s_cbranch_execz .LBB0_287
; %bb.286:                              ;   in Loop: Header=BB0_209 Depth=1
	.loc	1 68 56                         ; persistent_matmul.py:68:56
	v_lshl_add_u64 v[44:45], v[42:43], 1, v[34:35]
	.loc	1 74 25                         ; persistent_matmul.py:74:25
	global_store_short v[44:45], v46, off
.LBB0_287:                              ;   in Loop: Header=BB0_209 Depth=1
	.loc	1 0 25 is_stmt 0                ; persistent_matmul.py:0:25
	s_or_b64 exec, exec, s[18:19]
	.loc	1 67 41 is_stmt 1               ; persistent_matmul.py:67:41
	v_or_b32_e32 v47, s57, v73
	.loc	1 68 68                         ; persistent_matmul.py:68:68
	v_mul_lo_u32 v44, v47, s17
	.loc	1 69 62                         ; persistent_matmul.py:69:62
	v_cmp_gt_i32_e64 s[40:41], s9, v47
	.loc	1 68 56                         ; persistent_matmul.py:68:56
	v_ashrrev_i32_e32 v45, 31, v44
	.loc	1 69 43                         ; persistent_matmul.py:69:43
	s_and_b64 s[20:21], s[0:1], s[40:41]
	.loc	1 74 25                         ; persistent_matmul.py:74:25
	s_and_saveexec_b64 s[18:19], s[20:21]
	s_cbranch_execz .LBB0_289
; %bb.288:                              ;   in Loop: Header=BB0_209 Depth=1
	.loc	1 68 56                         ; persistent_matmul.py:68:56
	v_lshl_add_u64 v[48:49], v[44:45], 1, v[34:35]
	.loc	1 74 25                         ; persistent_matmul.py:74:25
	global_store_short_d16_hi v[48:49], v46, off
.LBB0_289:                              ;   in Loop: Header=BB0_209 Depth=1
	.loc	1 0 25 is_stmt 0                ; persistent_matmul.py:0:25
	s_or_b64 exec, exec, s[18:19]
	.loc	1 67 41 is_stmt 1               ; persistent_matmul.py:67:41
	v_or_b32_e32 v48, s57, v74
	.loc	1 68 68                         ; persistent_matmul.py:68:68
	v_mul_lo_u32 v46, v48, s17
	.loc	1 69 62                         ; persistent_matmul.py:69:62
	v_cmp_gt_i32_e64 s[18:19], s9, v48
	.loc	1 68 56                         ; persistent_matmul.py:68:56
	v_ashrrev_i32_e32 v47, 31, v46
	.loc	1 69 43                         ; persistent_matmul.py:69:43
	s_and_b64 s[22:23], s[0:1], s[18:19]
	.loc	1 74 25                         ; persistent_matmul.py:74:25
	s_and_saveexec_b64 s[20:21], s[22:23]
	s_cbranch_execz .LBB0_291
; %bb.290:                              ;   in Loop: Header=BB0_209 Depth=1
	.loc	1 68 56                         ; persistent_matmul.py:68:56
	v_lshl_add_u64 v[48:49], v[46:47], 1, v[34:35]
	.loc	1 74 25                         ; persistent_matmul.py:74:25
	global_store_short v[48:49], v50, off
.LBB0_291:                              ;   in Loop: Header=BB0_209 Depth=1
	.loc	1 0 25 is_stmt 0                ; persistent_matmul.py:0:25
	s_or_b64 exec, exec, s[20:21]
	.loc	1 67 41 is_stmt 1               ; persistent_matmul.py:67:41
	v_or_b32_e32 v51, s57, v75
	.loc	1 68 68                         ; persistent_matmul.py:68:68
	v_mul_lo_u32 v48, v51, s17
	.loc	1 69 62                         ; persistent_matmul.py:69:62
	v_cmp_gt_i32_e64 s[20:21], s9, v51
	.loc	1 68 56                         ; persistent_matmul.py:68:56
	v_ashrrev_i32_e32 v49, 31, v48
	.loc	1 69 43                         ; persistent_matmul.py:69:43
	s_and_b64 s[24:25], s[0:1], s[20:21]
	.loc	1 74 25                         ; persistent_matmul.py:74:25
	s_and_saveexec_b64 s[22:23], s[24:25]
	s_cbranch_execz .LBB0_293
; %bb.292:                              ;   in Loop: Header=BB0_209 Depth=1
	.loc	1 68 56                         ; persistent_matmul.py:68:56
	v_lshl_add_u64 v[52:53], v[48:49], 1, v[34:35]
	.loc	1 74 25                         ; persistent_matmul.py:74:25
	global_store_short_d16_hi v[52:53], v50, off
.LBB0_293:                              ;   in Loop: Header=BB0_209 Depth=1
	.loc	1 0 25 is_stmt 0                ; persistent_matmul.py:0:25
	s_or_b64 exec, exec, s[22:23]
	.loc	1 67 41 is_stmt 1               ; persistent_matmul.py:67:41
	v_or_b32_e32 v52, s57, v76
	.loc	1 68 68                         ; persistent_matmul.py:68:68
	v_mul_lo_u32 v50, v52, s17
	.loc	1 69 62                         ; persistent_matmul.py:69:62
	v_cmp_gt_i32_e64 s[22:23], s9, v52
	.loc	1 68 56                         ; persistent_matmul.py:68:56
	v_ashrrev_i32_e32 v51, 31, v50
	.loc	1 69 43                         ; persistent_matmul.py:69:43
	s_and_b64 s[26:27], s[0:1], s[22:23]
	.loc	1 74 25                         ; persistent_matmul.py:74:25
	s_and_saveexec_b64 s[24:25], s[26:27]
	s_cbranch_execz .LBB0_295
; %bb.294:                              ;   in Loop: Header=BB0_209 Depth=1
	.loc	1 68 56                         ; persistent_matmul.py:68:56
	v_lshl_add_u64 v[52:53], v[50:51], 1, v[34:35]
	.loc	1 74 25                         ; persistent_matmul.py:74:25
	global_store_short v[52:53], v54, off
.LBB0_295:                              ;   in Loop: Header=BB0_209 Depth=1
	.loc	1 0 25 is_stmt 0                ; persistent_matmul.py:0:25
	s_or_b64 exec, exec, s[24:25]
	.loc	1 67 41 is_stmt 1               ; persistent_matmul.py:67:41
	v_or_b32_e32 v55, s57, v77
	.loc	1 68 68                         ; persistent_matmul.py:68:68
	v_mul_lo_u32 v52, v55, s17
	.loc	1 69 62                         ; persistent_matmul.py:69:62
	v_cmp_gt_i32_e64 s[24:25], s9, v55
	.loc	1 68 56                         ; persistent_matmul.py:68:56
	v_ashrrev_i32_e32 v53, 31, v52
	.loc	1 69 43                         ; persistent_matmul.py:69:43
	s_and_b64 s[28:29], s[0:1], s[24:25]
	.loc	1 74 25                         ; persistent_matmul.py:74:25
	s_and_saveexec_b64 s[26:27], s[28:29]
	s_cbranch_execz .LBB0_297
; %bb.296:                              ;   in Loop: Header=BB0_209 Depth=1
	.loc	1 68 56                         ; persistent_matmul.py:68:56
	v_lshl_add_u64 v[56:57], v[52:53], 1, v[34:35]
	.loc	1 74 25                         ; persistent_matmul.py:74:25
	global_store_short_d16_hi v[56:57], v54, off
.LBB0_297:                              ;   in Loop: Header=BB0_209 Depth=1
	.loc	1 0 25 is_stmt 0                ; persistent_matmul.py:0:25
	s_or_b64 exec, exec, s[26:27]
	.loc	1 67 41 is_stmt 1               ; persistent_matmul.py:67:41
	v_or_b32_e32 v56, s57, v78
	.loc	1 68 68                         ; persistent_matmul.py:68:68
	v_mul_lo_u32 v54, v56, s17
	.loc	1 69 62                         ; persistent_matmul.py:69:62
	v_cmp_gt_i32_e64 s[26:27], s9, v56
	.loc	1 68 56                         ; persistent_matmul.py:68:56
	v_ashrrev_i32_e32 v55, 31, v54
	.loc	1 69 43                         ; persistent_matmul.py:69:43
	s_and_b64 s[30:31], s[0:1], s[26:27]
	.loc	1 74 25                         ; persistent_matmul.py:74:25
	s_and_saveexec_b64 s[28:29], s[30:31]
	s_cbranch_execz .LBB0_299
; %bb.298:                              ;   in Loop: Header=BB0_209 Depth=1
	.loc	1 68 56                         ; persistent_matmul.py:68:56
	v_lshl_add_u64 v[56:57], v[54:55], 1, v[34:35]
	.loc	1 74 25                         ; persistent_matmul.py:74:25
	global_store_short v[56:57], v58, off
.LBB0_299:                              ;   in Loop: Header=BB0_209 Depth=1
	.loc	1 0 25 is_stmt 0                ; persistent_matmul.py:0:25
	s_or_b64 exec, exec, s[28:29]
	.loc	1 67 41 is_stmt 1               ; persistent_matmul.py:67:41
	v_or_b32_e32 v59, s57, v79
	.loc	1 68 68                         ; persistent_matmul.py:68:68
	v_mul_lo_u32 v56, v59, s17
	.loc	1 69 62                         ; persistent_matmul.py:69:62
	v_cmp_gt_i32_e64 s[28:29], s9, v59
	.loc	1 68 56                         ; persistent_matmul.py:68:56
	v_ashrrev_i32_e32 v57, 31, v56
	.loc	1 69 43                         ; persistent_matmul.py:69:43
	s_and_b64 s[34:35], s[0:1], s[28:29]
	.loc	1 74 25                         ; persistent_matmul.py:74:25
	s_and_saveexec_b64 s[30:31], s[34:35]
	s_cbranch_execz .LBB0_301
; %bb.300:                              ;   in Loop: Header=BB0_209 Depth=1
	.loc	1 68 56                         ; persistent_matmul.py:68:56
	v_lshl_add_u64 v[60:61], v[56:57], 1, v[34:35]
	.loc	1 74 25                         ; persistent_matmul.py:74:25
	global_store_short_d16_hi v[60:61], v58, off
.LBB0_301:                              ;   in Loop: Header=BB0_209 Depth=1
	.loc	1 0 25 is_stmt 0                ; persistent_matmul.py:0:25
	s_or_b64 exec, exec, s[30:31]
	.loc	1 67 41 is_stmt 1               ; persistent_matmul.py:67:41
	v_or_b32_e32 v60, s57, v80
	.loc	1 68 68                         ; persistent_matmul.py:68:68
	v_mul_lo_u32 v58, v60, s17
	.loc	1 69 62                         ; persistent_matmul.py:69:62
	v_cmp_gt_i32_e64 s[30:31], s9, v60
	.loc	1 68 56                         ; persistent_matmul.py:68:56
	v_ashrrev_i32_e32 v59, 31, v58
	.loc	1 69 43                         ; persistent_matmul.py:69:43
	s_and_b64 s[36:37], s[0:1], s[30:31]
	.loc	1 74 25                         ; persistent_matmul.py:74:25
	s_and_saveexec_b64 s[34:35], s[36:37]
	s_cbranch_execz .LBB0_303
; %bb.302:                              ;   in Loop: Header=BB0_209 Depth=1
	.loc	1 68 56                         ; persistent_matmul.py:68:56
	v_lshl_add_u64 v[60:61], v[58:59], 1, v[34:35]
	.loc	1 74 25                         ; persistent_matmul.py:74:25
	global_store_short v[60:61], v62, off
.LBB0_303:                              ;   in Loop: Header=BB0_209 Depth=1
	.loc	1 0 25 is_stmt 0                ; persistent_matmul.py:0:25
	s_or_b64 exec, exec, s[34:35]
	.loc	1 67 41 is_stmt 1               ; persistent_matmul.py:67:41
	v_or_b32_e32 v63, s57, v81
	.loc	1 68 68                         ; persistent_matmul.py:68:68
	v_mul_lo_u32 v60, v63, s17
	.loc	1 69 62                         ; persistent_matmul.py:69:62
	v_cmp_gt_i32_e64 s[34:35], s9, v63
	.loc	1 68 56                         ; persistent_matmul.py:68:56
	v_ashrrev_i32_e32 v61, 31, v60
	.loc	1 69 43                         ; persistent_matmul.py:69:43
	s_and_b64 s[38:39], s[0:1], s[34:35]
	.loc	1 74 25                         ; persistent_matmul.py:74:25
	s_and_saveexec_b64 s[36:37], s[38:39]
	s_cbranch_execz .LBB0_305
; %bb.304:                              ;   in Loop: Header=BB0_209 Depth=1
	.loc	1 68 56                         ; persistent_matmul.py:68:56
	v_lshl_add_u64 v[64:65], v[60:61], 1, v[34:35]
	.loc	1 74 25                         ; persistent_matmul.py:74:25
	global_store_short_d16_hi v[64:65], v62, off
.LBB0_305:                              ;   in Loop: Header=BB0_209 Depth=1
	.loc	1 0 25 is_stmt 0                ; persistent_matmul.py:0:25
	s_or_b64 exec, exec, s[36:37]
	.loc	1 67 41 is_stmt 1               ; persistent_matmul.py:67:41
	v_or_b32_e32 v64, s57, v82
	.loc	1 68 68                         ; persistent_matmul.py:68:68
	v_mul_lo_u32 v62, v64, s17
	.loc	1 69 62                         ; persistent_matmul.py:69:62
	v_cmp_gt_i32_e64 s[36:37], s9, v64
	.loc	1 68 56                         ; persistent_matmul.py:68:56
	v_ashrrev_i32_e32 v63, 31, v62
	.loc	1 69 43                         ; persistent_matmul.py:69:43
	s_and_b64 s[88:89], s[0:1], s[36:37]
	.loc	1 74 25                         ; persistent_matmul.py:74:25
	s_and_saveexec_b64 s[38:39], s[88:89]
	s_cbranch_execz .LBB0_307
; %bb.306:                              ;   in Loop: Header=BB0_209 Depth=1
	.loc	1 68 56                         ; persistent_matmul.py:68:56
	v_lshl_add_u64 v[64:65], v[62:63], 1, v[34:35]
	.loc	1 74 25                         ; persistent_matmul.py:74:25
	global_store_short v[64:65], v141, off
.LBB0_307:                              ;   in Loop: Header=BB0_209 Depth=1
	.loc	1 0 25 is_stmt 0                ; persistent_matmul.py:0:25
	s_or_b64 exec, exec, s[38:39]
	.loc	1 67 41 is_stmt 1               ; persistent_matmul.py:67:41
	v_or_b32_e32 v142, s57, v83
	.loc	1 68 68                         ; persistent_matmul.py:68:68
	v_mul_lo_u32 v64, v142, s17
	.loc	1 69 62                         ; persistent_matmul.py:69:62
	v_cmp_gt_i32_e64 s[38:39], s9, v142
	.loc	1 68 56                         ; persistent_matmul.py:68:56
	v_ashrrev_i32_e32 v65, 31, v64
	.loc	1 69 43                         ; persistent_matmul.py:69:43
	s_and_b64 s[88:89], s[0:1], s[38:39]
	.loc	1 74 25                         ; persistent_matmul.py:74:25
	s_and_saveexec_b64 s[0:1], s[88:89]
	s_cbranch_execz .LBB0_309
; %bb.308:                              ;   in Loop: Header=BB0_209 Depth=1
	.loc	1 68 56                         ; persistent_matmul.py:68:56
	v_lshl_add_u64 v[34:35], v[64:65], 1, v[34:35]
	.loc	1 74 25                         ; persistent_matmul.py:74:25
	global_store_short_d16_hi v[34:35], v141, off
.LBB0_309:                              ;   in Loop: Header=BB0_209 Depth=1
	.loc	1 0 25 is_stmt 0                ; persistent_matmul.py:0:25
	s_or_b64 exec, exec, s[0:1]
	.loc	1 66 41 is_stmt 1               ; persistent_matmul.py:66:41
	v_or_b32_e32 v141, s56, v67
	.loc	1 68 37                         ; persistent_matmul.py:68:37
	v_mul_lo_u32 v34, v141, s15
	.loc	1 68 25 is_stmt 0               ; persistent_matmul.py:68:25
	v_ashrrev_i32_e32 v35, 31, v34
	.loc	1 69 37 is_stmt 1               ; persistent_matmul.py:69:37
	v_cmp_gt_i32_e64 s[0:1], s8, v141
	.loc	1 68 25                         ; persistent_matmul.py:68:25
	v_lshl_add_u64 v[34:35], v[34:35], 1, s[6:7]
	.loc	1 69 43                         ; persistent_matmul.py:69:43
	s_and_b64 s[88:89], s[0:1], vcc
	.loc	1 74 25                         ; persistent_matmul.py:74:25
	s_and_saveexec_b64 s[56:57], s[88:89]
	s_cbranch_execnz .LBB0_325
; %bb.310:                              ;   in Loop: Header=BB0_209 Depth=1
	.loc	1 0 25 is_stmt 0                ; persistent_matmul.py:0:25
	s_or_b64 exec, exec, s[56:57]
	.loc	1 69 43 is_stmt 1               ; persistent_matmul.py:69:43
	s_and_b64 s[56:57], s[0:1], s[44:45]
	.loc	1 74 25                         ; persistent_matmul.py:74:25
	s_and_saveexec_b64 s[44:45], s[56:57]
	s_cbranch_execnz .LBB0_326
.LBB0_311:                              ;   in Loop: Header=BB0_209 Depth=1
	.loc	1 0 25 is_stmt 0                ; persistent_matmul.py:0:25
	s_or_b64 exec, exec, s[44:45]
	.loc	1 69 43 is_stmt 1               ; persistent_matmul.py:69:43
	s_and_b64 s[48:49], s[0:1], s[48:49]
	.loc	1 74 25                         ; persistent_matmul.py:74:25
	s_and_saveexec_b64 s[44:45], s[48:49]
	s_cbranch_execnz .LBB0_327
.LBB0_312:                              ;   in Loop: Header=BB0_209 Depth=1
	.loc	1 0 25 is_stmt 0                ; persistent_matmul.py:0:25
	s_or_b64 exec, exec, s[44:45]
	.loc	1 69 43 is_stmt 1               ; persistent_matmul.py:69:43
	s_and_b64 s[46:47], s[0:1], s[46:47]
	.loc	1 74 25                         ; persistent_matmul.py:74:25
	s_and_saveexec_b64 s[44:45], s[46:47]
	s_cbranch_execnz .LBB0_328
.LBB0_313:                              ;   in Loop: Header=BB0_209 Depth=1
	.loc	1 0 25 is_stmt 0                ; persistent_matmul.py:0:25
	s_or_b64 exec, exec, s[44:45]
	.loc	1 69 43 is_stmt 1               ; persistent_matmul.py:69:43
	s_and_b64 s[44:45], s[0:1], s[42:43]
	.loc	1 74 25                         ; persistent_matmul.py:74:25
	s_and_saveexec_b64 s[42:43], s[44:45]
	s_cbranch_execnz .LBB0_329
.LBB0_314:                              ;   in Loop: Header=BB0_209 Depth=1
	.loc	1 0 25 is_stmt 0                ; persistent_matmul.py:0:25
	s_or_b64 exec, exec, s[42:43]
	.loc	1 69 43 is_stmt 1               ; persistent_matmul.py:69:43
	s_and_b64 s[42:43], s[0:1], s[40:41]
	.loc	1 74 25                         ; persistent_matmul.py:74:25
	s_and_saveexec_b64 s[40:41], s[42:43]
	s_cbranch_execnz .LBB0_330
.LBB0_315:                              ;   in Loop: Header=BB0_209 Depth=1
	.loc	1 0 25 is_stmt 0                ; persistent_matmul.py:0:25
	s_or_b64 exec, exec, s[40:41]
	.loc	1 69 43 is_stmt 1               ; persistent_matmul.py:69:43
	s_and_b64 s[40:41], s[0:1], s[18:19]
	.loc	1 74 25                         ; persistent_matmul.py:74:25
	s_and_saveexec_b64 s[18:19], s[40:41]
	s_cbranch_execnz .LBB0_331
.LBB0_316:                              ;   in Loop: Header=BB0_209 Depth=1
	.loc	1 0 25 is_stmt 0                ; persistent_matmul.py:0:25
	s_or_b64 exec, exec, s[18:19]
	.loc	1 69 43 is_stmt 1               ; persistent_matmul.py:69:43
	s_and_b64 s[20:21], s[0:1], s[20:21]
	.loc	1 74 25                         ; persistent_matmul.py:74:25
	s_and_saveexec_b64 s[18:19], s[20:21]
	s_cbranch_execnz .LBB0_332
.LBB0_317:                              ;   in Loop: Header=BB0_209 Depth=1
	.loc	1 0 25 is_stmt 0                ; persistent_matmul.py:0:25
	s_or_b64 exec, exec, s[18:19]
	.loc	1 69 43 is_stmt 1               ; persistent_matmul.py:69:43
	s_and_b64 s[20:21], s[0:1], s[22:23]
	.loc	1 74 25                         ; persistent_matmul.py:74:25
	s_and_saveexec_b64 s[18:19], s[20:21]
	s_cbranch_execnz .LBB0_333
.LBB0_318:                              ;   in Loop: Header=BB0_209 Depth=1
	.loc	1 0 25 is_stmt 0                ; persistent_matmul.py:0:25
	s_or_b64 exec, exec, s[18:19]
	.loc	1 69 43 is_stmt 1               ; persistent_matmul.py:69:43
	s_and_b64 s[20:21], s[0:1], s[24:25]
	.loc	1 74 25                         ; persistent_matmul.py:74:25
	s_and_saveexec_b64 s[18:19], s[20:21]
	s_cbranch_execnz .LBB0_334
.LBB0_319:                              ;   in Loop: Header=BB0_209 Depth=1
	.loc	1 0 25 is_stmt 0                ; persistent_matmul.py:0:25
	s_or_b64 exec, exec, s[18:19]
	.loc	1 69 43 is_stmt 1               ; persistent_matmul.py:69:43
	s_and_b64 s[20:21], s[0:1], s[26:27]
	.loc	1 74 25                         ; persistent_matmul.py:74:25
	s_and_saveexec_b64 s[18:19], s[20:21]
	s_cbranch_execnz .LBB0_335
.LBB0_320:                              ;   in Loop: Header=BB0_209 Depth=1
	.loc	1 0 25 is_stmt 0                ; persistent_matmul.py:0:25
	s_or_b64 exec, exec, s[18:19]
	.loc	1 69 43 is_stmt 1               ; persistent_matmul.py:69:43
	s_and_b64 s[20:21], s[0:1], s[28:29]
	.loc	1 74 25                         ; persistent_matmul.py:74:25
	s_and_saveexec_b64 s[18:19], s[20:21]
	s_cbranch_execnz .LBB0_336
.LBB0_321:                              ;   in Loop: Header=BB0_209 Depth=1
	.loc	1 0 25 is_stmt 0                ; persistent_matmul.py:0:25
	s_or_b64 exec, exec, s[18:19]
	.loc	1 69 43 is_stmt 1               ; persistent_matmul.py:69:43
	s_and_b64 s[20:21], s[0:1], s[30:31]
	.loc	1 74 25                         ; persistent_matmul.py:74:25
	s_and_saveexec_b64 s[18:19], s[20:21]
	s_cbranch_execnz .LBB0_337
.LBB0_322:                              ;   in Loop: Header=BB0_209 Depth=1
	.loc	1 0 25 is_stmt 0                ; persistent_matmul.py:0:25
	s_or_b64 exec, exec, s[18:19]
	.loc	1 69 43 is_stmt 1               ; persistent_matmul.py:69:43
	s_and_b64 s[20:21], s[0:1], s[34:35]
	.loc	1 74 25                         ; persistent_matmul.py:74:25
	s_and_saveexec_b64 s[18:19], s[20:21]
	s_cbranch_execnz .LBB0_338
.LBB0_323:                              ;   in Loop: Header=BB0_209 Depth=1
	.loc	1 0 25 is_stmt 0                ; persistent_matmul.py:0:25
	s_or_b64 exec, exec, s[18:19]
	.loc	1 69 43 is_stmt 1               ; persistent_matmul.py:69:43
	s_and_b64 s[20:21], s[0:1], s[36:37]
	.loc	1 74 25                         ; persistent_matmul.py:74:25
	s_and_saveexec_b64 s[18:19], s[20:21]
	s_cbranch_execnz .LBB0_339
.LBB0_324:                              ;   in Loop: Header=BB0_209 Depth=1
	.loc	1 0 25 is_stmt 0                ; persistent_matmul.py:0:25
	s_or_b64 exec, exec, s[18:19]
	.loc	1 69 43 is_stmt 1               ; persistent_matmul.py:69:43
	s_and_b64 s[18:19], s[0:1], s[38:39]
	.loc	1 74 25                         ; persistent_matmul.py:74:25
	s_and_saveexec_b64 s[0:1], s[18:19]
	s_cbranch_execz .LBB0_207
	s_branch .LBB0_340
.LBB0_325:                              ;   in Loop: Header=BB0_209 Depth=1
	.loc	1 68 56                         ; persistent_matmul.py:68:56
	v_lshl_add_u64 v[32:33], v[32:33], 1, v[34:35]
	.loc	1 74 25                         ; persistent_matmul.py:74:25
	global_store_short v[32:33], v140, off
	s_or_b64 exec, exec, s[56:57]
	.loc	1 69 43                         ; persistent_matmul.py:69:43
	s_and_b64 s[56:57], s[0:1], s[44:45]
	.loc	1 74 25                         ; persistent_matmul.py:74:25
	s_and_saveexec_b64 s[44:45], s[56:57]
	s_cbranch_execz .LBB0_311
.LBB0_326:                              ;   in Loop: Header=BB0_209 Depth=1
	.loc	1 68 56                         ; persistent_matmul.py:68:56
	v_lshl_add_u64 v[32:33], v[36:37], 1, v[34:35]
	.loc	1 74 25                         ; persistent_matmul.py:74:25
	global_store_short_d16_hi v[32:33], v140, off
	s_or_b64 exec, exec, s[44:45]
	.loc	1 69 43                         ; persistent_matmul.py:69:43
	s_and_b64 s[48:49], s[0:1], s[48:49]
	.loc	1 74 25                         ; persistent_matmul.py:74:25
	s_and_saveexec_b64 s[44:45], s[48:49]
	s_cbranch_execz .LBB0_312
.LBB0_327:                              ;   in Loop: Header=BB0_209 Depth=1
	.loc	1 68 56                         ; persistent_matmul.py:68:56
	v_lshl_add_u64 v[32:33], v[38:39], 1, v[34:35]
	.loc	1 74 25                         ; persistent_matmul.py:74:25
	global_store_short v[32:33], v139, off
	s_or_b64 exec, exec, s[44:45]
	.loc	1 69 43                         ; persistent_matmul.py:69:43
	s_and_b64 s[46:47], s[0:1], s[46:47]
	.loc	1 74 25                         ; persistent_matmul.py:74:25
	s_and_saveexec_b64 s[44:45], s[46:47]
	s_cbranch_execz .LBB0_313
.LBB0_328:                              ;   in Loop: Header=BB0_209 Depth=1
	.loc	1 68 56                         ; persistent_matmul.py:68:56
	v_lshl_add_u64 v[32:33], v[40:41], 1, v[34:35]
	.loc	1 74 25                         ; persistent_matmul.py:74:25
	global_store_short_d16_hi v[32:33], v139, off
	s_or_b64 exec, exec, s[44:45]
	.loc	1 69 43                         ; persistent_matmul.py:69:43
	s_and_b64 s[44:45], s[0:1], s[42:43]
	.loc	1 74 25                         ; persistent_matmul.py:74:25
	s_and_saveexec_b64 s[42:43], s[44:45]
	s_cbranch_execz .LBB0_314
.LBB0_329:                              ;   in Loop: Header=BB0_209 Depth=1
	.loc	1 68 56                         ; persistent_matmul.py:68:56
	v_lshl_add_u64 v[32:33], v[42:43], 1, v[34:35]
	.loc	1 74 25                         ; persistent_matmul.py:74:25
	global_store_short v[32:33], v138, off
	s_or_b64 exec, exec, s[42:43]
	.loc	1 69 43                         ; persistent_matmul.py:69:43
	s_and_b64 s[42:43], s[0:1], s[40:41]
	.loc	1 74 25                         ; persistent_matmul.py:74:25
	s_and_saveexec_b64 s[40:41], s[42:43]
	s_cbranch_execz .LBB0_315
.LBB0_330:                              ;   in Loop: Header=BB0_209 Depth=1
	.loc	1 68 56                         ; persistent_matmul.py:68:56
	v_lshl_add_u64 v[32:33], v[44:45], 1, v[34:35]
	.loc	1 74 25                         ; persistent_matmul.py:74:25
	global_store_short_d16_hi v[32:33], v138, off
	s_or_b64 exec, exec, s[40:41]
	.loc	1 69 43                         ; persistent_matmul.py:69:43
	s_and_b64 s[40:41], s[0:1], s[18:19]
	.loc	1 74 25                         ; persistent_matmul.py:74:25
	s_and_saveexec_b64 s[18:19], s[40:41]
	s_cbranch_execz .LBB0_316
.LBB0_331:                              ;   in Loop: Header=BB0_209 Depth=1
	.loc	1 68 56                         ; persistent_matmul.py:68:56
	v_lshl_add_u64 v[32:33], v[46:47], 1, v[34:35]
	.loc	1 74 25                         ; persistent_matmul.py:74:25
	global_store_short v[32:33], v137, off
	s_or_b64 exec, exec, s[18:19]
	.loc	1 69 43                         ; persistent_matmul.py:69:43
	s_and_b64 s[20:21], s[0:1], s[20:21]
	.loc	1 74 25                         ; persistent_matmul.py:74:25
	s_and_saveexec_b64 s[18:19], s[20:21]
	s_cbranch_execz .LBB0_317
.LBB0_332:                              ;   in Loop: Header=BB0_209 Depth=1
	.loc	1 68 56                         ; persistent_matmul.py:68:56
	v_lshl_add_u64 v[32:33], v[48:49], 1, v[34:35]
	.loc	1 74 25                         ; persistent_matmul.py:74:25
	global_store_short_d16_hi v[32:33], v137, off
	s_or_b64 exec, exec, s[18:19]
	.loc	1 69 43                         ; persistent_matmul.py:69:43
	s_and_b64 s[20:21], s[0:1], s[22:23]
	.loc	1 74 25                         ; persistent_matmul.py:74:25
	s_and_saveexec_b64 s[18:19], s[20:21]
	s_cbranch_execz .LBB0_318
.LBB0_333:                              ;   in Loop: Header=BB0_209 Depth=1
	.loc	1 68 56                         ; persistent_matmul.py:68:56
	v_lshl_add_u64 v[32:33], v[50:51], 1, v[34:35]
	.loc	1 74 25                         ; persistent_matmul.py:74:25
	global_store_short v[32:33], v136, off
	s_or_b64 exec, exec, s[18:19]
	.loc	1 69 43                         ; persistent_matmul.py:69:43
	s_and_b64 s[20:21], s[0:1], s[24:25]
	.loc	1 74 25                         ; persistent_matmul.py:74:25
	s_and_saveexec_b64 s[18:19], s[20:21]
	s_cbranch_execz .LBB0_319
.LBB0_334:                              ;   in Loop: Header=BB0_209 Depth=1
	.loc	1 68 56                         ; persistent_matmul.py:68:56
	v_lshl_add_u64 v[32:33], v[52:53], 1, v[34:35]
	.loc	1 74 25                         ; persistent_matmul.py:74:25
	global_store_short_d16_hi v[32:33], v136, off
	s_or_b64 exec, exec, s[18:19]
	.loc	1 69 43                         ; persistent_matmul.py:69:43
	s_and_b64 s[20:21], s[0:1], s[26:27]
	.loc	1 74 25                         ; persistent_matmul.py:74:25
	s_and_saveexec_b64 s[18:19], s[20:21]
	s_cbranch_execz .LBB0_320
.LBB0_335:                              ;   in Loop: Header=BB0_209 Depth=1
	.loc	1 68 56                         ; persistent_matmul.py:68:56
	v_lshl_add_u64 v[32:33], v[54:55], 1, v[34:35]
	.loc	1 74 25                         ; persistent_matmul.py:74:25
	global_store_short v[32:33], v135, off
	s_or_b64 exec, exec, s[18:19]
	.loc	1 69 43                         ; persistent_matmul.py:69:43
	s_and_b64 s[20:21], s[0:1], s[28:29]
	.loc	1 74 25                         ; persistent_matmul.py:74:25
	s_and_saveexec_b64 s[18:19], s[20:21]
	s_cbranch_execz .LBB0_321
.LBB0_336:                              ;   in Loop: Header=BB0_209 Depth=1
	.loc	1 68 56                         ; persistent_matmul.py:68:56
	v_lshl_add_u64 v[32:33], v[56:57], 1, v[34:35]
	.loc	1 74 25                         ; persistent_matmul.py:74:25
	global_store_short_d16_hi v[32:33], v135, off
	s_or_b64 exec, exec, s[18:19]
	.loc	1 69 43                         ; persistent_matmul.py:69:43
	s_and_b64 s[20:21], s[0:1], s[30:31]
	.loc	1 74 25                         ; persistent_matmul.py:74:25
	s_and_saveexec_b64 s[18:19], s[20:21]
	s_cbranch_execz .LBB0_322
.LBB0_337:                              ;   in Loop: Header=BB0_209 Depth=1
	.loc	1 68 56                         ; persistent_matmul.py:68:56
	v_lshl_add_u64 v[32:33], v[58:59], 1, v[34:35]
	.loc	1 74 25                         ; persistent_matmul.py:74:25
	global_store_short v[32:33], v134, off
	s_or_b64 exec, exec, s[18:19]
	.loc	1 69 43                         ; persistent_matmul.py:69:43
	s_and_b64 s[20:21], s[0:1], s[34:35]
	.loc	1 74 25                         ; persistent_matmul.py:74:25
	s_and_saveexec_b64 s[18:19], s[20:21]
	s_cbranch_execz .LBB0_323
.LBB0_338:                              ;   in Loop: Header=BB0_209 Depth=1
	.loc	1 68 56                         ; persistent_matmul.py:68:56
	v_lshl_add_u64 v[32:33], v[60:61], 1, v[34:35]
	.loc	1 74 25                         ; persistent_matmul.py:74:25
	global_store_short_d16_hi v[32:33], v134, off
	s_or_b64 exec, exec, s[18:19]
	.loc	1 69 43                         ; persistent_matmul.py:69:43
	s_and_b64 s[20:21], s[0:1], s[36:37]
	.loc	1 74 25                         ; persistent_matmul.py:74:25
	s_and_saveexec_b64 s[18:19], s[20:21]
	s_cbranch_execz .LBB0_324
.LBB0_339:                              ;   in Loop: Header=BB0_209 Depth=1
	.loc	1 68 56                         ; persistent_matmul.py:68:56
	v_lshl_add_u64 v[32:33], v[62:63], 1, v[34:35]
	.loc	1 74 25                         ; persistent_matmul.py:74:25
	global_store_short v[32:33], v133, off
	s_or_b64 exec, exec, s[18:19]
	.loc	1 69 43                         ; persistent_matmul.py:69:43
	s_and_b64 s[18:19], s[0:1], s[38:39]
	.loc	1 74 25                         ; persistent_matmul.py:74:25
	s_and_saveexec_b64 s[0:1], s[18:19]
	s_cbranch_execz .LBB0_207
.LBB0_340:                              ;   in Loop: Header=BB0_209 Depth=1
	.loc	1 68 56                         ; persistent_matmul.py:68:56
	v_lshl_add_u64 v[32:33], v[64:65], 1, v[34:35]
	.loc	1 74 25                         ; persistent_matmul.py:74:25
	global_store_short_d16_hi v[32:33], v133, off
	s_branch .LBB0_207
.LBB0_341:                              ; %Flow207
	.loc	1 0 25 is_stmt 0                ; persistent_matmul.py:0:25
	v_readlane_b32 s30, v150, 20
	v_xor_b32_e32 v32, 0x440, v98
	.loc	1 64 21 is_stmt 1               ; persistent_matmul.py:64:21
	s_add_i32 s0, s81, 0x130
.LBB0_342:                              ; %._crit_edge
	.loc	1 61 24                         ; persistent_matmul.py:61:24
	v_add_u32_e32 v33, 0, v98
	v_add_u32_e32 v32, 0, v32
	.loc	1 60 24                         ; persistent_matmul.py:60:24
	s_waitcnt lgkmcnt(0)
	s_barrier
	.loc	1 61 24                         ; persistent_matmul.py:61:24
	ds_read_b64_tr_b16 v[46:47], v33 offset:16384
	ds_read_b64_tr_b16 v[42:43], v33 offset:20480
	;; [unrolled: 1-line block ×8, first 2 shown]
	.loc	1 62 39                         ; persistent_matmul.py:62:39
	v_readlane_b32 s2, v150, 18
	v_readlane_b32 s3, v150, 19
	s_andn2_b64 vcc, exec, s[2:3]
	s_cbranch_vccnz .LBB0_344
; %bb.343:
	.loc	1 60 24                         ; persistent_matmul.py:60:24
	v_lshlrev_b32_e32 v32, 7, v84
	v_and_b32_e32 v33, 0x70, v88
	s_lshl_b32 s1, s30, 4
	v_or_b32_e32 v50, v32, v33
	v_lshrrev_b32_e32 v51, 1, v85
	v_bitop3_b32 v50, s1, v50, v51 bitop3:0xf6
	v_add_u32_e32 v52, 0, v50
	ds_read_b128 v[54:57], v52
	v_xad_u32 v53, v50, 32, 0
	.loc	1 62 39                         ; persistent_matmul.py:62:39
	s_waitcnt lgkmcnt(0)
	v_mfma_f32_32x32x16_f16 v[0:15], v[46:49], v[54:57], v[0:15]
	.loc	1 60 24                         ; persistent_matmul.py:60:24
	ds_read_b128 v[54:57], v53
	v_xad_u32 v50, v50, 64, 0
	v_bitop3_b32 v32, v32, v51, v33 bitop3:0x36
	.loc	1 62 39                         ; persistent_matmul.py:62:39
	s_waitcnt lgkmcnt(0)
	v_mfma_f32_32x32x16_f16 v[0:15], v[42:45], v[54:57], v[0:15]
	.loc	1 60 24                         ; persistent_matmul.py:60:24
	ds_read_b128 v[56:59], v50
	v_mov_b32_e32 v54, 0x60
	v_bitop3_b32 v32, s1, v54, v32 bitop3:0x36
	v_add_u32_e32 v32, 0, v32
	.loc	1 62 39                         ; persistent_matmul.py:62:39
	s_waitcnt lgkmcnt(0)
	v_mfma_f32_32x32x16_f16 v[0:15], v[38:41], v[56:59], v[0:15]
	.loc	1 60 24                         ; persistent_matmul.py:60:24
	ds_read_b128 v[54:57], v32
	.loc	1 62 39                         ; persistent_matmul.py:62:39
	s_waitcnt lgkmcnt(0)
	v_mfma_f32_32x32x16_f16 v[0:15], v[34:37], v[54:57], v[0:15]
	.loc	1 60 24                         ; persistent_matmul.py:60:24
	ds_read_b128 v[54:57], v52 offset:8192
	.loc	1 62 39                         ; persistent_matmul.py:62:39
	s_waitcnt lgkmcnt(0)
	v_mfma_f32_32x32x16_f16 v[16:31], v[46:49], v[54:57], v[16:31]
	.loc	1 60 24                         ; persistent_matmul.py:60:24
	ds_read_b128 v[46:49], v53 offset:8192
	;; [unrolled: 5-line block ×4, first 2 shown]
	.loc	1 62 39                         ; persistent_matmul.py:62:39
	s_waitcnt lgkmcnt(0)
	v_mfma_f32_32x32x16_f16 v[16:31], v[34:37], v[38:41], v[16:31]
.LBB0_344:
	.loc	1 43 59                         ; persistent_matmul.py:43:59
	s_cmp_lg_u32 s77, s84
	s_cselect_b64 s[2:3], -1, 0
	s_or_b64 s[2:3], s[54:55], s[2:3]
	s_and_b64 vcc, exec, s[2:3]
	s_cbranch_vccnz .LBB0_395
; %bb.345:
.Ltmp48:
	.loc	1 10 26                         ; persistent_matmul.py:10:26 @[ persistent_matmul.py:65:90 ]
	s_abs_i32 s3, s0
	v_readlane_b32 s4, v150, 2
	s_mul_hi_u32 s4, s3, s4
	s_mul_i32 s5, s4, s60
	s_ashr_i32 s1, s0, 31
	v_readlane_b32 s2, v150, 1
	s_sub_i32 s5, s3, s5
	s_xor_b32 s2, s1, s2
	s_add_i32 s10, s4, 1
	s_sub_i32 s11, s5, s60
	s_cmp_ge_u32 s5, s60
	s_cselect_b32 s4, s10, s4
	s_cselect_b32 s5, s11, s5
	s_add_i32 s10, s4, 1
	s_cmp_ge_u32 s5, s60
	s_cselect_b32 s4, s10, s4
	s_xor_b32 s4, s4, s2
	s_sub_i32 s2, s4, s2
	.loc	1 11 29                         ; persistent_matmul.py:11:29 @[ persistent_matmul.py:65:90 ]
	s_lshl_b32 s4, s2, 3
	.loc	1 12 35                         ; persistent_matmul.py:12:35 @[ persistent_matmul.py:65:90 ]
	s_sub_i32 s5, s33, s4
	.loc	1 12 48 is_stmt 0               ; persistent_matmul.py:12:48 @[ persistent_matmul.py:65:90 ]
	s_min_i32 s5, s5, 8
	.loc	1 13 37 is_stmt 1               ; persistent_matmul.py:13:37 @[ persistent_matmul.py:65:90 ]
	s_abs_i32 s10, s5
	v_cvt_f32_u32_e32 v32, s10
	s_sub_i32 s11, 0, s10
	.loc	1 14 23                         ; persistent_matmul.py:14:23 @[ persistent_matmul.py:65:90 ]
	s_mul_i32 s2, s2, s59
.Ltmp49:
	.loc	1 73 31                         ; persistent_matmul.py:73:31
	v_cvt_pk_f16_f32 v51, v0, v1
.Ltmp50:
	.loc	1 13 37                         ; persistent_matmul.py:13:37 @[ persistent_matmul.py:65:90 ]
	v_rcp_iflag_f32_e32 v32, v32
.Ltmp51:
	.loc	1 73 31                         ; persistent_matmul.py:73:31
	v_cvt_pk_f16_f32 v50, v2, v3
	s_waitcnt lgkmcnt(3)
	v_cvt_pk_f16_f32 v49, v4, v5
	v_cvt_pk_f16_f32 v48, v6, v7
.Ltmp52:
	.loc	1 13 37                         ; persistent_matmul.py:13:37 @[ persistent_matmul.py:65:90 ]
	v_mul_f32_e32 v32, 0x4f7ffffe, v32
	v_cvt_u32_f32_e32 v32, v32
.Ltmp53:
	.loc	1 73 31                         ; persistent_matmul.py:73:31
	v_cvt_pk_f16_f32 v47, v8, v9
	v_cvt_pk_f16_f32 v46, v10, v11
	s_waitcnt lgkmcnt(2)
	v_cvt_pk_f16_f32 v45, v12, v13
.Ltmp54:
	.loc	1 13 37                         ; persistent_matmul.py:13:37 @[ persistent_matmul.py:65:90 ]
	v_readfirstlane_b32 s12, v32
	s_mul_i32 s11, s11, s12
	s_mul_hi_u32 s11, s12, s11
	s_add_i32 s12, s12, s11
	s_mul_hi_u32 s11, s3, s12
	s_mul_i32 s11, s11, s10
	s_sub_i32 s3, s3, s11
	s_sub_i32 s11, s3, s10
	s_cmp_ge_u32 s3, s10
	s_cselect_b32 s3, s11, s3
	s_sub_i32 s11, s3, s10
	s_cmp_ge_u32 s3, s10
	s_cselect_b32 s3, s11, s3
	.loc	1 14 23                         ; persistent_matmul.py:14:23 @[ persistent_matmul.py:65:90 ]
	s_sub_i32 s0, s0, s2
	.loc	1 13 37                         ; persistent_matmul.py:13:37 @[ persistent_matmul.py:65:90 ]
	s_xor_b32 s2, s3, s1
	.loc	1 14 44                         ; persistent_matmul.py:14:44 @[ persistent_matmul.py:65:90 ]
	s_xor_b32 s3, s0, s5
	.loc	1 13 37                         ; persistent_matmul.py:13:37 @[ persistent_matmul.py:65:90 ]
	s_sub_i32 s1, s2, s1
	.loc	1 14 44                         ; persistent_matmul.py:14:44 @[ persistent_matmul.py:65:90 ]
	s_abs_i32 s0, s0
	.loc	1 13 27                         ; persistent_matmul.py:13:27 @[ persistent_matmul.py:65:90 ]
	s_add_i32 s4, s4, s1
	.loc	1 14 44                         ; persistent_matmul.py:14:44 @[ persistent_matmul.py:65:90 ]
	s_mul_hi_u32 s1, s0, s12
	s_ashr_i32 s2, s3, 31
	s_mul_i32 s3, s1, s10
	s_sub_i32 s0, s0, s3
	s_add_i32 s3, s1, 1
	s_sub_i32 s5, s0, s10
	s_cmp_ge_u32 s0, s10
	s_cselect_b32 s1, s3, s1
	s_cselect_b32 s0, s5, s0
	s_add_i32 s3, s1, 1
	s_cmp_ge_u32 s0, s10
	s_cselect_b32 s0, s3, s1
	s_xor_b32 s0, s0, s2
.Ltmp55:
	.loc	1 66 26                         ; persistent_matmul.py:66:26
	s_lshl_b32 s14, s4, 7
.Ltmp56:
	.loc	1 14 44                         ; persistent_matmul.py:14:44 @[ persistent_matmul.py:65:90 ]
	s_sub_i32 s0, s0, s2
.Ltmp57:
	.loc	1 66 41                         ; persistent_matmul.py:66:41
	s_waitcnt lgkmcnt(0)
	v_or_b32_e32 v36, s14, v66
	.loc	1 67 26                         ; persistent_matmul.py:67:26
	s_lshl_b32 s42, s0, 7
	.loc	1 68 37                         ; persistent_matmul.py:68:37
	v_mul_lo_u32 v32, v36, s15
	.loc	1 67 41                         ; persistent_matmul.py:67:41
	v_or_b32_e32 v37, s42, v68
	.loc	1 68 25                         ; persistent_matmul.py:68:25
	v_ashrrev_i32_e32 v33, 31, v32
	v_lshl_add_u64 v[34:35], v[32:33], 1, s[6:7]
	.loc	1 68 68 is_stmt 0               ; persistent_matmul.py:68:68
	v_mul_lo_u32 v32, v37, s17
	.loc	1 69 37 is_stmt 1               ; persistent_matmul.py:69:37
	v_cmp_gt_i32_e64 s[0:1], s8, v36
	.loc	1 69 62 is_stmt 0               ; persistent_matmul.py:69:62
	v_cmp_gt_i32_e32 vcc, s9, v37
	.loc	1 73 31 is_stmt 1               ; persistent_matmul.py:73:31
	v_cvt_pk_f16_f32 v44, v14, v15
	v_cvt_pk_f16_f32 v43, v16, v17
	;; [unrolled: 1-line block ×9, first 2 shown]
	.loc	1 68 56                         ; persistent_matmul.py:68:56
	v_ashrrev_i32_e32 v33, 31, v32
	.loc	1 69 43                         ; persistent_matmul.py:69:43
	s_and_b64 s[4:5], s[0:1], vcc
	.loc	1 73 31                         ; persistent_matmul.py:73:31
	v_permlane32_swap_b32_e32 v51, v49
	v_permlane32_swap_b32_e32 v50, v48
	;; [unrolled: 1-line block ×8, first 2 shown]
	.loc	1 74 25                         ; persistent_matmul.py:74:25
	s_and_saveexec_b64 s[2:3], s[4:5]
	s_cbranch_execz .LBB0_347
; %bb.346:
	.loc	1 0 25 is_stmt 0                ; persistent_matmul.py:0:25
	v_lshl_add_u64 v[0:1], v[32:33], 1, v[34:35]
	.loc	1 74 25                         ; persistent_matmul.py:74:25
	global_store_short v[0:1], v51, off
.LBB0_347:
	.loc	1 0 25                          ; persistent_matmul.py:0:25
	s_or_b64 exec, exec, s[2:3]
	.loc	1 67 41 is_stmt 1               ; persistent_matmul.py:67:41
	v_or_b32_e32 v2, s42, v69
	.loc	1 68 68                         ; persistent_matmul.py:68:68
	v_mul_lo_u32 v0, v2, s17
	.loc	1 69 62                         ; persistent_matmul.py:69:62
	v_cmp_gt_i32_e64 s[2:3], s9, v2
	.loc	1 68 56                         ; persistent_matmul.py:68:56
	v_ashrrev_i32_e32 v1, 31, v0
	.loc	1 69 43                         ; persistent_matmul.py:69:43
	s_and_b64 s[10:11], s[0:1], s[2:3]
	.loc	1 74 25                         ; persistent_matmul.py:74:25
	s_and_saveexec_b64 s[4:5], s[10:11]
	s_cbranch_execz .LBB0_349
; %bb.348:
	.loc	1 68 56                         ; persistent_matmul.py:68:56
	v_lshl_add_u64 v[2:3], v[0:1], 1, v[34:35]
	.loc	1 74 25                         ; persistent_matmul.py:74:25
	global_store_short_d16_hi v[2:3], v51, off
.LBB0_349:
	.loc	1 0 25 is_stmt 0                ; persistent_matmul.py:0:25
	s_or_b64 exec, exec, s[4:5]
	.loc	1 67 41 is_stmt 1               ; persistent_matmul.py:67:41
	v_or_b32_e32 v4, s42, v70
	.loc	1 68 68                         ; persistent_matmul.py:68:68
	v_mul_lo_u32 v2, v4, s17
	.loc	1 69 62                         ; persistent_matmul.py:69:62
	v_cmp_gt_i32_e64 s[4:5], s9, v4
	.loc	1 68 56                         ; persistent_matmul.py:68:56
	v_ashrrev_i32_e32 v3, 31, v2
	.loc	1 69 43                         ; persistent_matmul.py:69:43
	s_and_b64 s[12:13], s[0:1], s[4:5]
	.loc	1 74 25                         ; persistent_matmul.py:74:25
	s_and_saveexec_b64 s[10:11], s[12:13]
	s_cbranch_execz .LBB0_351
; %bb.350:
	.loc	1 68 56                         ; persistent_matmul.py:68:56
	v_lshl_add_u64 v[4:5], v[2:3], 1, v[34:35]
	.loc	1 74 25                         ; persistent_matmul.py:74:25
	global_store_short v[4:5], v50, off
.LBB0_351:
	.loc	1 0 25 is_stmt 0                ; persistent_matmul.py:0:25
	s_or_b64 exec, exec, s[10:11]
	.loc	1 67 41 is_stmt 1               ; persistent_matmul.py:67:41
	v_or_b32_e32 v6, s42, v71
	.loc	1 68 68                         ; persistent_matmul.py:68:68
	v_mul_lo_u32 v4, v6, s17
	.loc	1 69 62                         ; persistent_matmul.py:69:62
	v_cmp_gt_i32_e64 s[40:41], s9, v6
	.loc	1 68 56                         ; persistent_matmul.py:68:56
	v_ashrrev_i32_e32 v5, 31, v4
	.loc	1 69 43                         ; persistent_matmul.py:69:43
	s_and_b64 s[12:13], s[0:1], s[40:41]
	.loc	1 74 25                         ; persistent_matmul.py:74:25
	s_and_saveexec_b64 s[10:11], s[12:13]
	s_cbranch_execz .LBB0_353
; %bb.352:
	.loc	1 68 56                         ; persistent_matmul.py:68:56
	v_lshl_add_u64 v[6:7], v[4:5], 1, v[34:35]
	.loc	1 74 25                         ; persistent_matmul.py:74:25
	global_store_short_d16_hi v[6:7], v50, off
.LBB0_353:
	.loc	1 0 25 is_stmt 0                ; persistent_matmul.py:0:25
	s_or_b64 exec, exec, s[10:11]
	.loc	1 67 41 is_stmt 1               ; persistent_matmul.py:67:41
	v_or_b32_e32 v8, s42, v72
	.loc	1 68 68                         ; persistent_matmul.py:68:68
	v_mul_lo_u32 v6, v8, s17
	.loc	1 69 62                         ; persistent_matmul.py:69:62
	v_cmp_gt_i32_e64 s[10:11], s9, v8
	.loc	1 68 56                         ; persistent_matmul.py:68:56
	v_ashrrev_i32_e32 v7, 31, v6
	.loc	1 69 43                         ; persistent_matmul.py:69:43
	s_and_b64 s[18:19], s[0:1], s[10:11]
	.loc	1 74 25                         ; persistent_matmul.py:74:25
	s_and_saveexec_b64 s[12:13], s[18:19]
	s_cbranch_execz .LBB0_355
; %bb.354:
	.loc	1 68 56                         ; persistent_matmul.py:68:56
	v_lshl_add_u64 v[8:9], v[6:7], 1, v[34:35]
	.loc	1 74 25                         ; persistent_matmul.py:74:25
	global_store_short v[8:9], v49, off
.LBB0_355:
	.loc	1 0 25 is_stmt 0                ; persistent_matmul.py:0:25
	;; [unrolled: 42-line block ×7, first 2 shown]
	s_or_b64 exec, exec, s[34:35]
	.loc	1 67 41 is_stmt 1               ; persistent_matmul.py:67:41
	v_or_b32_e32 v30, s42, v83
	.loc	1 68 68                         ; persistent_matmul.py:68:68
	v_mul_lo_u32 v28, v30, s17
	.loc	1 69 62                         ; persistent_matmul.py:69:62
	v_cmp_gt_i32_e64 s[34:35], s9, v30
	.loc	1 68 56                         ; persistent_matmul.py:68:56
	v_ashrrev_i32_e32 v29, 31, v28
	.loc	1 69 43                         ; persistent_matmul.py:69:43
	s_and_b64 s[42:43], s[0:1], s[34:35]
	.loc	1 74 25                         ; persistent_matmul.py:74:25
	s_and_saveexec_b64 s[0:1], s[42:43]
	s_cbranch_execz .LBB0_377
; %bb.376:
	.loc	1 68 56                         ; persistent_matmul.py:68:56
	v_lshl_add_u64 v[30:31], v[28:29], 1, v[34:35]
	.loc	1 74 25                         ; persistent_matmul.py:74:25
	global_store_short_d16_hi v[30:31], v44, off
.LBB0_377:
	.loc	1 0 25 is_stmt 0                ; persistent_matmul.py:0:25
	s_or_b64 exec, exec, s[0:1]
	.loc	1 66 41 is_stmt 1               ; persistent_matmul.py:66:41
	v_or_b32_e32 v34, s14, v67
	.loc	1 68 37                         ; persistent_matmul.py:68:37
	v_mul_lo_u32 v30, v34, s15
	.loc	1 68 25 is_stmt 0               ; persistent_matmul.py:68:25
	v_ashrrev_i32_e32 v31, 31, v30
	.loc	1 69 37 is_stmt 1               ; persistent_matmul.py:69:37
	v_cmp_gt_i32_e64 s[0:1], s8, v34
	.loc	1 68 25                         ; persistent_matmul.py:68:25
	v_lshl_add_u64 v[30:31], v[30:31], 1, s[6:7]
	.loc	1 69 43                         ; persistent_matmul.py:69:43
	s_and_b64 s[44:45], s[0:1], vcc
	.loc	1 74 25                         ; persistent_matmul.py:74:25
	s_and_saveexec_b64 s[42:43], s[44:45]
	s_cbranch_execnz .LBB0_465
; %bb.378:
	.loc	1 0 25 is_stmt 0                ; persistent_matmul.py:0:25
	s_or_b64 exec, exec, s[42:43]
	.loc	1 69 43 is_stmt 1               ; persistent_matmul.py:69:43
	s_and_b64 s[42:43], s[0:1], s[2:3]
	.loc	1 74 25                         ; persistent_matmul.py:74:25
	s_and_saveexec_b64 s[2:3], s[42:43]
	s_cbranch_execnz .LBB0_466
.LBB0_379:
	.loc	1 0 25 is_stmt 0                ; persistent_matmul.py:0:25
	s_or_b64 exec, exec, s[2:3]
	.loc	1 69 43 is_stmt 1               ; persistent_matmul.py:69:43
	s_and_b64 s[4:5], s[0:1], s[4:5]
	.loc	1 74 25                         ; persistent_matmul.py:74:25
	s_and_saveexec_b64 s[2:3], s[4:5]
	s_cbranch_execnz .LBB0_467
.LBB0_380:
	.loc	1 0 25 is_stmt 0                ; persistent_matmul.py:0:25
	s_or_b64 exec, exec, s[2:3]
	.loc	1 69 43 is_stmt 1               ; persistent_matmul.py:69:43
	s_and_b64 s[4:5], s[0:1], s[40:41]
	.loc	1 74 25                         ; persistent_matmul.py:74:25
	s_and_saveexec_b64 s[2:3], s[4:5]
	s_cbranch_execnz .LBB0_468
.LBB0_381:
	.loc	1 0 25 is_stmt 0                ; persistent_matmul.py:0:25
	s_or_b64 exec, exec, s[2:3]
	.loc	1 69 43 is_stmt 1               ; persistent_matmul.py:69:43
	s_and_b64 s[4:5], s[0:1], s[10:11]
	.loc	1 74 25                         ; persistent_matmul.py:74:25
	s_and_saveexec_b64 s[2:3], s[4:5]
	s_cbranch_execnz .LBB0_469
.LBB0_382:
	.loc	1 0 25 is_stmt 0                ; persistent_matmul.py:0:25
	s_or_b64 exec, exec, s[2:3]
	.loc	1 69 43 is_stmt 1               ; persistent_matmul.py:69:43
	s_and_b64 s[4:5], s[0:1], s[12:13]
	.loc	1 74 25                         ; persistent_matmul.py:74:25
	s_and_saveexec_b64 s[2:3], s[4:5]
	s_cbranch_execnz .LBB0_470
.LBB0_383:
	.loc	1 0 25 is_stmt 0                ; persistent_matmul.py:0:25
	s_or_b64 exec, exec, s[2:3]
	.loc	1 69 43 is_stmt 1               ; persistent_matmul.py:69:43
	s_and_b64 s[4:5], s[0:1], s[38:39]
	.loc	1 74 25                         ; persistent_matmul.py:74:25
	s_and_saveexec_b64 s[2:3], s[4:5]
	s_cbranch_execnz .LBB0_471
.LBB0_384:
	.loc	1 0 25 is_stmt 0                ; persistent_matmul.py:0:25
	s_or_b64 exec, exec, s[2:3]
	.loc	1 69 43 is_stmt 1               ; persistent_matmul.py:69:43
	s_and_b64 s[4:5], s[0:1], s[36:37]
	.loc	1 74 25                         ; persistent_matmul.py:74:25
	s_and_saveexec_b64 s[2:3], s[4:5]
	s_cbranch_execnz .LBB0_472
.LBB0_385:
	.loc	1 0 25 is_stmt 0                ; persistent_matmul.py:0:25
	s_or_b64 exec, exec, s[2:3]
	.loc	1 69 43 is_stmt 1               ; persistent_matmul.py:69:43
	s_and_b64 s[4:5], s[0:1], s[18:19]
	.loc	1 74 25                         ; persistent_matmul.py:74:25
	s_and_saveexec_b64 s[2:3], s[4:5]
	s_cbranch_execnz .LBB0_473
.LBB0_386:
	.loc	1 0 25 is_stmt 0                ; persistent_matmul.py:0:25
	s_or_b64 exec, exec, s[2:3]
	.loc	1 69 43 is_stmt 1               ; persistent_matmul.py:69:43
	s_and_b64 s[4:5], s[0:1], s[20:21]
	.loc	1 74 25                         ; persistent_matmul.py:74:25
	s_and_saveexec_b64 s[2:3], s[4:5]
	s_cbranch_execnz .LBB0_474
.LBB0_387:
	.loc	1 0 25 is_stmt 0                ; persistent_matmul.py:0:25
	s_or_b64 exec, exec, s[2:3]
	.loc	1 69 43 is_stmt 1               ; persistent_matmul.py:69:43
	s_and_b64 s[4:5], s[0:1], s[22:23]
	.loc	1 74 25                         ; persistent_matmul.py:74:25
	s_and_saveexec_b64 s[2:3], s[4:5]
	s_cbranch_execnz .LBB0_475
.LBB0_388:
	.loc	1 0 25 is_stmt 0                ; persistent_matmul.py:0:25
	s_or_b64 exec, exec, s[2:3]
	.loc	1 69 43 is_stmt 1               ; persistent_matmul.py:69:43
	s_and_b64 s[4:5], s[0:1], s[24:25]
	.loc	1 74 25                         ; persistent_matmul.py:74:25
	s_and_saveexec_b64 s[2:3], s[4:5]
	s_cbranch_execnz .LBB0_476
.LBB0_389:
	.loc	1 0 25 is_stmt 0                ; persistent_matmul.py:0:25
	s_or_b64 exec, exec, s[2:3]
	.loc	1 69 43 is_stmt 1               ; persistent_matmul.py:69:43
	s_and_b64 s[4:5], s[0:1], s[26:27]
	.loc	1 74 25                         ; persistent_matmul.py:74:25
	s_and_saveexec_b64 s[2:3], s[4:5]
	s_cbranch_execnz .LBB0_477
.LBB0_390:
	.loc	1 0 25 is_stmt 0                ; persistent_matmul.py:0:25
	s_or_b64 exec, exec, s[2:3]
	.loc	1 69 43 is_stmt 1               ; persistent_matmul.py:69:43
	s_and_b64 s[4:5], s[0:1], s[28:29]
	.loc	1 74 25                         ; persistent_matmul.py:74:25
	s_and_saveexec_b64 s[2:3], s[4:5]
	s_cbranch_execnz .LBB0_478
.LBB0_391:
	.loc	1 0 25 is_stmt 0                ; persistent_matmul.py:0:25
	s_or_b64 exec, exec, s[2:3]
	.loc	1 69 43 is_stmt 1               ; persistent_matmul.py:69:43
	s_and_b64 s[4:5], s[0:1], s[30:31]
	.loc	1 74 25                         ; persistent_matmul.py:74:25
	s_and_saveexec_b64 s[2:3], s[4:5]
	s_cbranch_execnz .LBB0_479
.LBB0_392:
	.loc	1 0 25 is_stmt 0                ; persistent_matmul.py:0:25
	s_or_b64 exec, exec, s[2:3]
	.loc	1 69 43 is_stmt 1               ; persistent_matmul.py:69:43
	s_and_b64 s[2:3], s[0:1], s[34:35]
	.loc	1 74 25                         ; persistent_matmul.py:74:25
	s_and_saveexec_b64 s[0:1], s[2:3]
	s_cbranch_execz .LBB0_394
.LBB0_393:
	.loc	1 68 56                         ; persistent_matmul.py:68:56
	v_lshl_add_u64 v[0:1], v[28:29], 1, v[30:31]
	.loc	1 74 25                         ; persistent_matmul.py:74:25
	global_store_short_d16_hi v[0:1], v36, off
.LBB0_394:                              ; %Flow
	.loc	1 0 25 is_stmt 0                ; persistent_matmul.py:0:25
	s_or_b64 exec, exec, s[0:1]
.LBB0_395:                              ; %Flow203
	s_mov_b64 s[0:1], 0
.LBB0_396:                              ; %Flow217
	s_and_b64 vcc, exec, s[0:1]
	s_cbranch_vccz .LBB0_464
; %bb.397:                              ; %.preheader
	.loc	1 43 59 is_stmt 1               ; persistent_matmul.py:43:59
	s_cmp_le_i32 s58, s16
	s_cbranch_scc1 .LBB0_464
; %bb.398:                              ; %.lr.ph9.preheader
	.loc	1 0 59 is_stmt 0                ; persistent_matmul.py:0:59
	s_abs_i32 s14, s59
	v_cvt_f32_u32_e32 v0, s14
	s_sub_i32 s0, 0, s14
	s_ashr_i32 s44, s59, 31
.Ltmp58:
	.loc	1 14 44 is_stmt 1               ; persistent_matmul.py:14:44 @[ persistent_matmul.py:65:90 ]
	s_sub_i32 s45, 0, s59
	v_rcp_iflag_f32_e32 v0, v0
	s_waitcnt lgkmcnt(0)
	v_mov_b32_e32 v34, 0
	v_mul_f32_e32 v0, 0x4f7ffffe, v0
	v_cvt_u32_f32_e32 v0, v0
	s_nop 0
	v_readfirstlane_b32 s1, v0
	s_mul_i32 s0, s0, s1
	s_mul_hi_u32 s0, s1, s0
	s_add_i32 s46, s1, s0
	s_branch .LBB0_400
.Ltmp59:
.LBB0_399:                              ;   in Loop: Header=BB0_400 Depth=1
	.loc	1 0 44 is_stmt 0                ; persistent_matmul.py:0:44
	s_or_b64 exec, exec, s[0:1]
	.loc	1 43 59 is_stmt 1               ; persistent_matmul.py:43:59
	s_addk_i32 s16, 0x130
	s_cmp_ge_i32 s16, s58
	s_cbranch_scc1 .LBB0_464
.LBB0_400:                              ; %.lr.ph9
                                        ; =>This Inner Loop Header: Depth=1
.Ltmp60:
	.loc	1 10 26                         ; persistent_matmul.py:10:26 @[ persistent_matmul.py:65:90 ]
	s_abs_i32 s2, s16
	s_mul_hi_u32 s3, s2, s46
	s_mul_i32 s4, s3, s14
	s_ashr_i32 s0, s16, 31
	s_sub_i32 s4, s2, s4
	s_xor_b32 s1, s0, s44
	s_add_i32 s5, s3, 1
	s_sub_i32 s10, s4, s14
	s_cmp_ge_u32 s4, s14
	s_cselect_b32 s3, s5, s3
	s_cselect_b32 s4, s10, s4
	s_add_i32 s5, s3, 1
	s_cmp_ge_u32 s4, s14
	s_cselect_b32 s3, s5, s3
	s_xor_b32 s3, s3, s1
	s_sub_i32 s1, s3, s1
	.loc	1 11 29                         ; persistent_matmul.py:11:29 @[ persistent_matmul.py:65:90 ]
	s_lshl_b32 s3, s1, 3
	.loc	1 12 35                         ; persistent_matmul.py:12:35 @[ persistent_matmul.py:65:90 ]
	s_sub_i32 s4, s33, s3
	.loc	1 12 48 is_stmt 0               ; persistent_matmul.py:12:48 @[ persistent_matmul.py:65:90 ]
	s_min_i32 s4, s4, 8
	.loc	1 13 37 is_stmt 1               ; persistent_matmul.py:13:37 @[ persistent_matmul.py:65:90 ]
	s_abs_i32 s5, s4
	v_cvt_f32_u32_e32 v0, s5
	s_sub_i32 s11, 0, s5
	s_ashr_i32 s4, s4, 31
	.loc	1 14 23                         ; persistent_matmul.py:14:23 @[ persistent_matmul.py:65:90 ]
	s_mul_i32 s10, s1, s59
	.loc	1 13 37                         ; persistent_matmul.py:13:37 @[ persistent_matmul.py:65:90 ]
	v_rcp_iflag_f32_e32 v0, v0
	.loc	1 14 44                         ; persistent_matmul.py:14:44 @[ persistent_matmul.py:65:90 ]
	s_mul_i32 s1, s45, s1
	.loc	1 13 37                         ; persistent_matmul.py:13:37 @[ persistent_matmul.py:65:90 ]
	v_mul_f32_e32 v0, 0x4f7ffffe, v0
	v_cvt_u32_f32_e32 v0, v0
	s_nop 0
	v_readfirstlane_b32 s12, v0
	s_mul_i32 s11, s11, s12
	s_mul_hi_u32 s11, s12, s11
	s_add_i32 s12, s12, s11
	s_mul_hi_u32 s11, s2, s12
	s_mul_i32 s11, s11, s5
	s_sub_i32 s2, s2, s11
	s_sub_i32 s11, s2, s5
	s_cmp_ge_u32 s2, s5
	s_cselect_b32 s2, s11, s2
	s_sub_i32 s11, s2, s5
	s_cmp_ge_u32 s2, s5
	s_cselect_b32 s2, s11, s2
	s_xor_b32 s2, s2, s0
	.loc	1 14 44                         ; persistent_matmul.py:14:44 @[ persistent_matmul.py:65:90 ]
	s_add_i32 s1, s16, s1
	.loc	1 13 37                         ; persistent_matmul.py:13:37 @[ persistent_matmul.py:65:90 ]
	s_sub_i32 s0, s2, s0
	.loc	1 13 27 is_stmt 0               ; persistent_matmul.py:13:27 @[ persistent_matmul.py:65:90 ]
	s_add_i32 s3, s3, s0
	.loc	1 14 44 is_stmt 1               ; persistent_matmul.py:14:44 @[ persistent_matmul.py:65:90 ]
	s_ashr_i32 s0, s1, 31
	s_sub_i32 s2, s0, s10
	s_add_i32 s2, s16, s2
	s_xor_b32 s1, s0, s4
	s_xor_b32 s0, s2, s0
	s_mul_hi_u32 s2, s0, s12
	s_mul_i32 s4, s2, s5
	s_sub_i32 s0, s0, s4
	s_add_i32 s4, s2, 1
	s_sub_i32 s10, s0, s5
	s_cmp_ge_u32 s0, s5
	s_cselect_b32 s2, s4, s2
	s_cselect_b32 s0, s10, s0
	s_add_i32 s4, s2, 1
	s_cmp_ge_u32 s0, s5
	s_cselect_b32 s0, s4, s2
	s_xor_b32 s0, s0, s1
.Ltmp61:
	.loc	1 66 26                         ; persistent_matmul.py:66:26
	s_lshl_b32 s42, s3, 7
.Ltmp62:
	.loc	1 14 44                         ; persistent_matmul.py:14:44 @[ persistent_matmul.py:65:90 ]
	s_sub_i32 s0, s0, s1
.Ltmp63:
	.loc	1 66 41                         ; persistent_matmul.py:66:41
	v_or_b32_e32 v2, s42, v66
	.loc	1 67 26                         ; persistent_matmul.py:67:26
	s_lshl_b32 s43, s0, 7
	.loc	1 68 37                         ; persistent_matmul.py:68:37
	v_mul_lo_u32 v0, v2, s15
	.loc	1 67 41                         ; persistent_matmul.py:67:41
	v_or_b32_e32 v3, s43, v68
	.loc	1 68 25                         ; persistent_matmul.py:68:25
	v_ashrrev_i32_e32 v1, 31, v0
	v_lshl_add_u64 v[6:7], v[0:1], 1, s[6:7]
	.loc	1 68 68 is_stmt 0               ; persistent_matmul.py:68:68
	v_mul_lo_u32 v0, v3, s17
	.loc	1 69 37 is_stmt 1               ; persistent_matmul.py:69:37
	v_cmp_gt_i32_e64 s[4:5], s8, v2
	.loc	1 69 62 is_stmt 0               ; persistent_matmul.py:69:62
	v_cmp_gt_i32_e32 vcc, s9, v3
	.loc	1 68 56 is_stmt 1               ; persistent_matmul.py:68:56
	v_ashrrev_i32_e32 v1, 31, v0
	.loc	1 69 43                         ; persistent_matmul.py:69:43
	s_and_b64 s[2:3], s[4:5], vcc
	.loc	1 74 25                         ; persistent_matmul.py:74:25
	s_and_saveexec_b64 s[0:1], s[2:3]
	s_cbranch_execz .LBB0_402
; %bb.401:                              ;   in Loop: Header=BB0_400 Depth=1
	.loc	1 0 25 is_stmt 0                ; persistent_matmul.py:0:25
	v_lshl_add_u64 v[2:3], v[0:1], 1, v[6:7]
	.loc	1 74 25                         ; persistent_matmul.py:74:25
	global_store_short v[2:3], v34, off
.LBB0_402:                              ;   in Loop: Header=BB0_400 Depth=1
	.loc	1 0 25                          ; persistent_matmul.py:0:25
	s_or_b64 exec, exec, s[0:1]
	.loc	1 67 41 is_stmt 1               ; persistent_matmul.py:67:41
	v_or_b32_e32 v4, s43, v69
	.loc	1 68 68                         ; persistent_matmul.py:68:68
	v_mul_lo_u32 v2, v4, s17
	.loc	1 69 62                         ; persistent_matmul.py:69:62
	v_cmp_gt_i32_e64 s[0:1], s9, v4
	.loc	1 68 56                         ; persistent_matmul.py:68:56
	v_ashrrev_i32_e32 v3, 31, v2
	.loc	1 69 43                         ; persistent_matmul.py:69:43
	s_and_b64 s[10:11], s[4:5], s[0:1]
	.loc	1 74 25                         ; persistent_matmul.py:74:25
	s_and_saveexec_b64 s[2:3], s[10:11]
	s_cbranch_execz .LBB0_404
; %bb.403:                              ;   in Loop: Header=BB0_400 Depth=1
	.loc	1 68 56                         ; persistent_matmul.py:68:56
	v_lshl_add_u64 v[4:5], v[2:3], 1, v[6:7]
	.loc	1 74 25                         ; persistent_matmul.py:74:25
	global_store_short v[4:5], v34, off
.LBB0_404:                              ;   in Loop: Header=BB0_400 Depth=1
	.loc	1 0 25 is_stmt 0                ; persistent_matmul.py:0:25
	s_or_b64 exec, exec, s[2:3]
	.loc	1 67 41 is_stmt 1               ; persistent_matmul.py:67:41
	v_or_b32_e32 v8, s43, v70
	.loc	1 68 68                         ; persistent_matmul.py:68:68
	v_mul_lo_u32 v4, v8, s17
	.loc	1 69 62                         ; persistent_matmul.py:69:62
	v_cmp_gt_i32_e64 s[2:3], s9, v8
	.loc	1 68 56                         ; persistent_matmul.py:68:56
	v_ashrrev_i32_e32 v5, 31, v4
	.loc	1 69 43                         ; persistent_matmul.py:69:43
	s_and_b64 s[12:13], s[4:5], s[2:3]
	.loc	1 74 25                         ; persistent_matmul.py:74:25
	s_and_saveexec_b64 s[10:11], s[12:13]
	s_cbranch_execz .LBB0_406
; %bb.405:                              ;   in Loop: Header=BB0_400 Depth=1
	.loc	1 68 56                         ; persistent_matmul.py:68:56
	v_lshl_add_u64 v[8:9], v[4:5], 1, v[6:7]
	.loc	1 74 25                         ; persistent_matmul.py:74:25
	global_store_short v[8:9], v34, off
.LBB0_406:                              ;   in Loop: Header=BB0_400 Depth=1
	.loc	1 0 25 is_stmt 0                ; persistent_matmul.py:0:25
	;; [unrolled: 21-line block ×15, first 2 shown]
	s_or_b64 exec, exec, s[4:5]
	.loc	1 66 41 is_stmt 1               ; persistent_matmul.py:66:41
	v_or_b32_e32 v35, s42, v67
	.loc	1 68 37                         ; persistent_matmul.py:68:37
	v_mul_lo_u32 v6, v35, s15
	.loc	1 68 25 is_stmt 0               ; persistent_matmul.py:68:25
	v_ashrrev_i32_e32 v7, 31, v6
	.loc	1 69 37 is_stmt 1               ; persistent_matmul.py:69:37
	v_cmp_gt_i32_e64 s[4:5], s8, v35
	.loc	1 68 25                         ; persistent_matmul.py:68:25
	v_lshl_add_u64 v[6:7], v[6:7], 1, s[6:7]
	.loc	1 69 43                         ; persistent_matmul.py:69:43
	s_and_b64 s[48:49], s[4:5], vcc
	.loc	1 74 25                         ; persistent_matmul.py:74:25
	s_and_saveexec_b64 s[42:43], s[48:49]
	s_cbranch_execnz .LBB0_448
; %bb.433:                              ;   in Loop: Header=BB0_400 Depth=1
	.loc	1 0 25 is_stmt 0                ; persistent_matmul.py:0:25
	s_or_b64 exec, exec, s[42:43]
	.loc	1 69 43 is_stmt 1               ; persistent_matmul.py:69:43
	s_and_b64 s[42:43], s[4:5], s[0:1]
	.loc	1 74 25                         ; persistent_matmul.py:74:25
	s_and_saveexec_b64 s[0:1], s[42:43]
	s_cbranch_execnz .LBB0_449
.LBB0_434:                              ;   in Loop: Header=BB0_400 Depth=1
	.loc	1 0 25 is_stmt 0                ; persistent_matmul.py:0:25
	s_or_b64 exec, exec, s[0:1]
	.loc	1 69 43 is_stmt 1               ; persistent_matmul.py:69:43
	s_and_b64 s[2:3], s[4:5], s[2:3]
	.loc	1 74 25                         ; persistent_matmul.py:74:25
	s_and_saveexec_b64 s[0:1], s[2:3]
	s_cbranch_execnz .LBB0_450
.LBB0_435:                              ;   in Loop: Header=BB0_400 Depth=1
	.loc	1 0 25 is_stmt 0                ; persistent_matmul.py:0:25
	s_or_b64 exec, exec, s[0:1]
	.loc	1 69 43 is_stmt 1               ; persistent_matmul.py:69:43
	s_and_b64 s[2:3], s[4:5], s[40:41]
	.loc	1 74 25                         ; persistent_matmul.py:74:25
	s_and_saveexec_b64 s[0:1], s[2:3]
	s_cbranch_execnz .LBB0_451
.LBB0_436:                              ;   in Loop: Header=BB0_400 Depth=1
	.loc	1 0 25 is_stmt 0                ; persistent_matmul.py:0:25
	s_or_b64 exec, exec, s[0:1]
	.loc	1 69 43 is_stmt 1               ; persistent_matmul.py:69:43
	s_and_b64 s[2:3], s[4:5], s[10:11]
	.loc	1 74 25                         ; persistent_matmul.py:74:25
	s_and_saveexec_b64 s[0:1], s[2:3]
	s_cbranch_execnz .LBB0_452
.LBB0_437:                              ;   in Loop: Header=BB0_400 Depth=1
	.loc	1 0 25 is_stmt 0                ; persistent_matmul.py:0:25
	s_or_b64 exec, exec, s[0:1]
	.loc	1 69 43 is_stmt 1               ; persistent_matmul.py:69:43
	s_and_b64 s[2:3], s[4:5], s[12:13]
	.loc	1 74 25                         ; persistent_matmul.py:74:25
	s_and_saveexec_b64 s[0:1], s[2:3]
	s_cbranch_execnz .LBB0_453
.LBB0_438:                              ;   in Loop: Header=BB0_400 Depth=1
	.loc	1 0 25 is_stmt 0                ; persistent_matmul.py:0:25
	s_or_b64 exec, exec, s[0:1]
	.loc	1 69 43 is_stmt 1               ; persistent_matmul.py:69:43
	s_and_b64 s[2:3], s[4:5], s[38:39]
	.loc	1 74 25                         ; persistent_matmul.py:74:25
	s_and_saveexec_b64 s[0:1], s[2:3]
	s_cbranch_execnz .LBB0_454
.LBB0_439:                              ;   in Loop: Header=BB0_400 Depth=1
	.loc	1 0 25 is_stmt 0                ; persistent_matmul.py:0:25
	s_or_b64 exec, exec, s[0:1]
	.loc	1 69 43 is_stmt 1               ; persistent_matmul.py:69:43
	s_and_b64 s[2:3], s[4:5], s[36:37]
	.loc	1 74 25                         ; persistent_matmul.py:74:25
	s_and_saveexec_b64 s[0:1], s[2:3]
	s_cbranch_execnz .LBB0_455
.LBB0_440:                              ;   in Loop: Header=BB0_400 Depth=1
	.loc	1 0 25 is_stmt 0                ; persistent_matmul.py:0:25
	s_or_b64 exec, exec, s[0:1]
	.loc	1 69 43 is_stmt 1               ; persistent_matmul.py:69:43
	s_and_b64 s[2:3], s[4:5], s[18:19]
	.loc	1 74 25                         ; persistent_matmul.py:74:25
	s_and_saveexec_b64 s[0:1], s[2:3]
	s_cbranch_execnz .LBB0_456
.LBB0_441:                              ;   in Loop: Header=BB0_400 Depth=1
	.loc	1 0 25 is_stmt 0                ; persistent_matmul.py:0:25
	s_or_b64 exec, exec, s[0:1]
	.loc	1 69 43 is_stmt 1               ; persistent_matmul.py:69:43
	s_and_b64 s[2:3], s[4:5], s[20:21]
	.loc	1 74 25                         ; persistent_matmul.py:74:25
	s_and_saveexec_b64 s[0:1], s[2:3]
	s_cbranch_execnz .LBB0_457
.LBB0_442:                              ;   in Loop: Header=BB0_400 Depth=1
	.loc	1 0 25 is_stmt 0                ; persistent_matmul.py:0:25
	s_or_b64 exec, exec, s[0:1]
	.loc	1 69 43 is_stmt 1               ; persistent_matmul.py:69:43
	s_and_b64 s[2:3], s[4:5], s[22:23]
	.loc	1 74 25                         ; persistent_matmul.py:74:25
	s_and_saveexec_b64 s[0:1], s[2:3]
	s_cbranch_execnz .LBB0_458
.LBB0_443:                              ;   in Loop: Header=BB0_400 Depth=1
	.loc	1 0 25 is_stmt 0                ; persistent_matmul.py:0:25
	s_or_b64 exec, exec, s[0:1]
	.loc	1 69 43 is_stmt 1               ; persistent_matmul.py:69:43
	s_and_b64 s[2:3], s[4:5], s[24:25]
	.loc	1 74 25                         ; persistent_matmul.py:74:25
	s_and_saveexec_b64 s[0:1], s[2:3]
	s_cbranch_execnz .LBB0_459
.LBB0_444:                              ;   in Loop: Header=BB0_400 Depth=1
	.loc	1 0 25 is_stmt 0                ; persistent_matmul.py:0:25
	s_or_b64 exec, exec, s[0:1]
	.loc	1 69 43 is_stmt 1               ; persistent_matmul.py:69:43
	s_and_b64 s[2:3], s[4:5], s[26:27]
	.loc	1 74 25                         ; persistent_matmul.py:74:25
	s_and_saveexec_b64 s[0:1], s[2:3]
	s_cbranch_execnz .LBB0_460
.LBB0_445:                              ;   in Loop: Header=BB0_400 Depth=1
	.loc	1 0 25 is_stmt 0                ; persistent_matmul.py:0:25
	s_or_b64 exec, exec, s[0:1]
	.loc	1 69 43 is_stmt 1               ; persistent_matmul.py:69:43
	s_and_b64 s[2:3], s[4:5], s[28:29]
	.loc	1 74 25                         ; persistent_matmul.py:74:25
	s_and_saveexec_b64 s[0:1], s[2:3]
	s_cbranch_execnz .LBB0_461
.LBB0_446:                              ;   in Loop: Header=BB0_400 Depth=1
	.loc	1 0 25 is_stmt 0                ; persistent_matmul.py:0:25
	s_or_b64 exec, exec, s[0:1]
	.loc	1 69 43 is_stmt 1               ; persistent_matmul.py:69:43
	s_and_b64 s[2:3], s[4:5], s[30:31]
	.loc	1 74 25                         ; persistent_matmul.py:74:25
	s_and_saveexec_b64 s[0:1], s[2:3]
	s_cbranch_execnz .LBB0_462
.LBB0_447:                              ;   in Loop: Header=BB0_400 Depth=1
	.loc	1 0 25 is_stmt 0                ; persistent_matmul.py:0:25
	s_or_b64 exec, exec, s[0:1]
	.loc	1 69 43 is_stmt 1               ; persistent_matmul.py:69:43
	s_and_b64 s[2:3], s[4:5], s[34:35]
	.loc	1 74 25                         ; persistent_matmul.py:74:25
	s_and_saveexec_b64 s[0:1], s[2:3]
	s_cbranch_execz .LBB0_399
	s_branch .LBB0_463
.LBB0_448:                              ;   in Loop: Header=BB0_400 Depth=1
	.loc	1 68 56                         ; persistent_matmul.py:68:56
	v_lshl_add_u64 v[0:1], v[0:1], 1, v[6:7]
	.loc	1 74 25                         ; persistent_matmul.py:74:25
	global_store_short v[0:1], v34, off
	s_or_b64 exec, exec, s[42:43]
	.loc	1 69 43                         ; persistent_matmul.py:69:43
	s_and_b64 s[42:43], s[4:5], s[0:1]
	.loc	1 74 25                         ; persistent_matmul.py:74:25
	s_and_saveexec_b64 s[0:1], s[42:43]
	s_cbranch_execz .LBB0_434
.LBB0_449:                              ;   in Loop: Header=BB0_400 Depth=1
	.loc	1 68 56                         ; persistent_matmul.py:68:56
	v_lshl_add_u64 v[0:1], v[2:3], 1, v[6:7]
	.loc	1 74 25                         ; persistent_matmul.py:74:25
	global_store_short v[0:1], v34, off
	s_or_b64 exec, exec, s[0:1]
	.loc	1 69 43                         ; persistent_matmul.py:69:43
	s_and_b64 s[2:3], s[4:5], s[2:3]
	.loc	1 74 25                         ; persistent_matmul.py:74:25
	s_and_saveexec_b64 s[0:1], s[2:3]
	s_cbranch_execz .LBB0_435
.LBB0_450:                              ;   in Loop: Header=BB0_400 Depth=1
	.loc	1 68 56                         ; persistent_matmul.py:68:56
	v_lshl_add_u64 v[0:1], v[4:5], 1, v[6:7]
	.loc	1 74 25                         ; persistent_matmul.py:74:25
	global_store_short v[0:1], v34, off
	s_or_b64 exec, exec, s[0:1]
	.loc	1 69 43                         ; persistent_matmul.py:69:43
	s_and_b64 s[2:3], s[4:5], s[40:41]
	.loc	1 74 25                         ; persistent_matmul.py:74:25
	s_and_saveexec_b64 s[0:1], s[2:3]
	s_cbranch_execz .LBB0_436
.LBB0_451:                              ;   in Loop: Header=BB0_400 Depth=1
	.loc	1 68 56                         ; persistent_matmul.py:68:56
	v_lshl_add_u64 v[0:1], v[8:9], 1, v[6:7]
	.loc	1 74 25                         ; persistent_matmul.py:74:25
	global_store_short v[0:1], v34, off
	s_or_b64 exec, exec, s[0:1]
	.loc	1 69 43                         ; persistent_matmul.py:69:43
	s_and_b64 s[2:3], s[4:5], s[10:11]
	.loc	1 74 25                         ; persistent_matmul.py:74:25
	s_and_saveexec_b64 s[0:1], s[2:3]
	s_cbranch_execz .LBB0_437
.LBB0_452:                              ;   in Loop: Header=BB0_400 Depth=1
	.loc	1 68 56                         ; persistent_matmul.py:68:56
	v_lshl_add_u64 v[0:1], v[10:11], 1, v[6:7]
	.loc	1 74 25                         ; persistent_matmul.py:74:25
	global_store_short v[0:1], v34, off
	s_or_b64 exec, exec, s[0:1]
	.loc	1 69 43                         ; persistent_matmul.py:69:43
	s_and_b64 s[2:3], s[4:5], s[12:13]
	.loc	1 74 25                         ; persistent_matmul.py:74:25
	s_and_saveexec_b64 s[0:1], s[2:3]
	s_cbranch_execz .LBB0_438
.LBB0_453:                              ;   in Loop: Header=BB0_400 Depth=1
	.loc	1 68 56                         ; persistent_matmul.py:68:56
	v_lshl_add_u64 v[0:1], v[12:13], 1, v[6:7]
	.loc	1 74 25                         ; persistent_matmul.py:74:25
	global_store_short v[0:1], v34, off
	s_or_b64 exec, exec, s[0:1]
	.loc	1 69 43                         ; persistent_matmul.py:69:43
	s_and_b64 s[2:3], s[4:5], s[38:39]
	.loc	1 74 25                         ; persistent_matmul.py:74:25
	s_and_saveexec_b64 s[0:1], s[2:3]
	s_cbranch_execz .LBB0_439
.LBB0_454:                              ;   in Loop: Header=BB0_400 Depth=1
	.loc	1 68 56                         ; persistent_matmul.py:68:56
	v_lshl_add_u64 v[0:1], v[14:15], 1, v[6:7]
	.loc	1 74 25                         ; persistent_matmul.py:74:25
	global_store_short v[0:1], v34, off
	s_or_b64 exec, exec, s[0:1]
	.loc	1 69 43                         ; persistent_matmul.py:69:43
	s_and_b64 s[2:3], s[4:5], s[36:37]
	.loc	1 74 25                         ; persistent_matmul.py:74:25
	s_and_saveexec_b64 s[0:1], s[2:3]
	s_cbranch_execz .LBB0_440
.LBB0_455:                              ;   in Loop: Header=BB0_400 Depth=1
	.loc	1 68 56                         ; persistent_matmul.py:68:56
	v_lshl_add_u64 v[0:1], v[16:17], 1, v[6:7]
	.loc	1 74 25                         ; persistent_matmul.py:74:25
	global_store_short v[0:1], v34, off
	s_or_b64 exec, exec, s[0:1]
	.loc	1 69 43                         ; persistent_matmul.py:69:43
	s_and_b64 s[2:3], s[4:5], s[18:19]
	.loc	1 74 25                         ; persistent_matmul.py:74:25
	s_and_saveexec_b64 s[0:1], s[2:3]
	s_cbranch_execz .LBB0_441
.LBB0_456:                              ;   in Loop: Header=BB0_400 Depth=1
	.loc	1 68 56                         ; persistent_matmul.py:68:56
	v_lshl_add_u64 v[0:1], v[18:19], 1, v[6:7]
	.loc	1 74 25                         ; persistent_matmul.py:74:25
	global_store_short v[0:1], v34, off
	s_or_b64 exec, exec, s[0:1]
	.loc	1 69 43                         ; persistent_matmul.py:69:43
	s_and_b64 s[2:3], s[4:5], s[20:21]
	.loc	1 74 25                         ; persistent_matmul.py:74:25
	s_and_saveexec_b64 s[0:1], s[2:3]
	s_cbranch_execz .LBB0_442
.LBB0_457:                              ;   in Loop: Header=BB0_400 Depth=1
	.loc	1 68 56                         ; persistent_matmul.py:68:56
	v_lshl_add_u64 v[0:1], v[20:21], 1, v[6:7]
	.loc	1 74 25                         ; persistent_matmul.py:74:25
	global_store_short v[0:1], v34, off
	s_or_b64 exec, exec, s[0:1]
	.loc	1 69 43                         ; persistent_matmul.py:69:43
	s_and_b64 s[2:3], s[4:5], s[22:23]
	.loc	1 74 25                         ; persistent_matmul.py:74:25
	s_and_saveexec_b64 s[0:1], s[2:3]
	s_cbranch_execz .LBB0_443
.LBB0_458:                              ;   in Loop: Header=BB0_400 Depth=1
	.loc	1 68 56                         ; persistent_matmul.py:68:56
	v_lshl_add_u64 v[0:1], v[22:23], 1, v[6:7]
	.loc	1 74 25                         ; persistent_matmul.py:74:25
	global_store_short v[0:1], v34, off
	s_or_b64 exec, exec, s[0:1]
	.loc	1 69 43                         ; persistent_matmul.py:69:43
	s_and_b64 s[2:3], s[4:5], s[24:25]
	.loc	1 74 25                         ; persistent_matmul.py:74:25
	s_and_saveexec_b64 s[0:1], s[2:3]
	s_cbranch_execz .LBB0_444
.LBB0_459:                              ;   in Loop: Header=BB0_400 Depth=1
	.loc	1 68 56                         ; persistent_matmul.py:68:56
	v_lshl_add_u64 v[0:1], v[24:25], 1, v[6:7]
	.loc	1 74 25                         ; persistent_matmul.py:74:25
	global_store_short v[0:1], v34, off
	s_or_b64 exec, exec, s[0:1]
	.loc	1 69 43                         ; persistent_matmul.py:69:43
	s_and_b64 s[2:3], s[4:5], s[26:27]
	.loc	1 74 25                         ; persistent_matmul.py:74:25
	s_and_saveexec_b64 s[0:1], s[2:3]
	s_cbranch_execz .LBB0_445
.LBB0_460:                              ;   in Loop: Header=BB0_400 Depth=1
	.loc	1 68 56                         ; persistent_matmul.py:68:56
	v_lshl_add_u64 v[0:1], v[26:27], 1, v[6:7]
	.loc	1 74 25                         ; persistent_matmul.py:74:25
	global_store_short v[0:1], v34, off
	s_or_b64 exec, exec, s[0:1]
	.loc	1 69 43                         ; persistent_matmul.py:69:43
	s_and_b64 s[2:3], s[4:5], s[28:29]
	.loc	1 74 25                         ; persistent_matmul.py:74:25
	s_and_saveexec_b64 s[0:1], s[2:3]
	s_cbranch_execz .LBB0_446
.LBB0_461:                              ;   in Loop: Header=BB0_400 Depth=1
	.loc	1 68 56                         ; persistent_matmul.py:68:56
	v_lshl_add_u64 v[0:1], v[28:29], 1, v[6:7]
	.loc	1 74 25                         ; persistent_matmul.py:74:25
	global_store_short v[0:1], v34, off
	s_or_b64 exec, exec, s[0:1]
	.loc	1 69 43                         ; persistent_matmul.py:69:43
	s_and_b64 s[2:3], s[4:5], s[30:31]
	.loc	1 74 25                         ; persistent_matmul.py:74:25
	s_and_saveexec_b64 s[0:1], s[2:3]
	s_cbranch_execz .LBB0_447
.LBB0_462:                              ;   in Loop: Header=BB0_400 Depth=1
	.loc	1 68 56                         ; persistent_matmul.py:68:56
	v_lshl_add_u64 v[0:1], v[30:31], 1, v[6:7]
	.loc	1 74 25                         ; persistent_matmul.py:74:25
	global_store_short v[0:1], v34, off
	s_or_b64 exec, exec, s[0:1]
	.loc	1 69 43                         ; persistent_matmul.py:69:43
	s_and_b64 s[2:3], s[4:5], s[34:35]
	.loc	1 74 25                         ; persistent_matmul.py:74:25
	s_and_saveexec_b64 s[0:1], s[2:3]
	s_cbranch_execz .LBB0_399
.LBB0_463:                              ;   in Loop: Header=BB0_400 Depth=1
	.loc	1 68 56                         ; persistent_matmul.py:68:56
	v_lshl_add_u64 v[0:1], v[32:33], 1, v[6:7]
	.loc	1 74 25                         ; persistent_matmul.py:74:25
	global_store_short v[0:1], v34, off
	s_branch .LBB0_399
.LBB0_464:                              ; %.loopexit
	.loc	1 43 4                          ; persistent_matmul.py:43:4
	s_endpgm
.LBB0_465:
	.loc	1 68 56                         ; persistent_matmul.py:68:56
	v_lshl_add_u64 v[32:33], v[32:33], 1, v[30:31]
	.loc	1 74 25                         ; persistent_matmul.py:74:25
	global_store_short v[32:33], v43, off
	s_or_b64 exec, exec, s[42:43]
	.loc	1 69 43                         ; persistent_matmul.py:69:43
	s_and_b64 s[42:43], s[0:1], s[2:3]
	.loc	1 74 25                         ; persistent_matmul.py:74:25
	s_and_saveexec_b64 s[2:3], s[42:43]
	s_cbranch_execz .LBB0_379
.LBB0_466:
	.loc	1 68 56                         ; persistent_matmul.py:68:56
	v_lshl_add_u64 v[0:1], v[0:1], 1, v[30:31]
	.loc	1 74 25                         ; persistent_matmul.py:74:25
	global_store_short_d16_hi v[0:1], v43, off
	s_or_b64 exec, exec, s[2:3]
	.loc	1 69 43                         ; persistent_matmul.py:69:43
	s_and_b64 s[4:5], s[0:1], s[4:5]
	.loc	1 74 25                         ; persistent_matmul.py:74:25
	s_and_saveexec_b64 s[2:3], s[4:5]
	s_cbranch_execz .LBB0_380
.LBB0_467:
	.loc	1 68 56                         ; persistent_matmul.py:68:56
	v_lshl_add_u64 v[0:1], v[2:3], 1, v[30:31]
	.loc	1 74 25                         ; persistent_matmul.py:74:25
	global_store_short v[0:1], v42, off
	s_or_b64 exec, exec, s[2:3]
	.loc	1 69 43                         ; persistent_matmul.py:69:43
	s_and_b64 s[4:5], s[0:1], s[40:41]
	.loc	1 74 25                         ; persistent_matmul.py:74:25
	s_and_saveexec_b64 s[2:3], s[4:5]
	s_cbranch_execz .LBB0_381
.LBB0_468:
	.loc	1 68 56                         ; persistent_matmul.py:68:56
	v_lshl_add_u64 v[0:1], v[4:5], 1, v[30:31]
	.loc	1 74 25                         ; persistent_matmul.py:74:25
	global_store_short_d16_hi v[0:1], v42, off
	s_or_b64 exec, exec, s[2:3]
	.loc	1 69 43                         ; persistent_matmul.py:69:43
	s_and_b64 s[4:5], s[0:1], s[10:11]
	.loc	1 74 25                         ; persistent_matmul.py:74:25
	s_and_saveexec_b64 s[2:3], s[4:5]
	s_cbranch_execz .LBB0_382
.LBB0_469:
	.loc	1 68 56                         ; persistent_matmul.py:68:56
	v_lshl_add_u64 v[0:1], v[6:7], 1, v[30:31]
	.loc	1 74 25                         ; persistent_matmul.py:74:25
	global_store_short v[0:1], v41, off
	s_or_b64 exec, exec, s[2:3]
	.loc	1 69 43                         ; persistent_matmul.py:69:43
	s_and_b64 s[4:5], s[0:1], s[12:13]
	.loc	1 74 25                         ; persistent_matmul.py:74:25
	s_and_saveexec_b64 s[2:3], s[4:5]
	s_cbranch_execz .LBB0_383
.LBB0_470:
	.loc	1 68 56                         ; persistent_matmul.py:68:56
	v_lshl_add_u64 v[0:1], v[8:9], 1, v[30:31]
	.loc	1 74 25                         ; persistent_matmul.py:74:25
	global_store_short_d16_hi v[0:1], v41, off
	s_or_b64 exec, exec, s[2:3]
	.loc	1 69 43                         ; persistent_matmul.py:69:43
	s_and_b64 s[4:5], s[0:1], s[38:39]
	.loc	1 74 25                         ; persistent_matmul.py:74:25
	s_and_saveexec_b64 s[2:3], s[4:5]
	s_cbranch_execz .LBB0_384
.LBB0_471:
	.loc	1 68 56                         ; persistent_matmul.py:68:56
	v_lshl_add_u64 v[0:1], v[10:11], 1, v[30:31]
	.loc	1 74 25                         ; persistent_matmul.py:74:25
	global_store_short v[0:1], v40, off
	s_or_b64 exec, exec, s[2:3]
	.loc	1 69 43                         ; persistent_matmul.py:69:43
	s_and_b64 s[4:5], s[0:1], s[36:37]
	.loc	1 74 25                         ; persistent_matmul.py:74:25
	s_and_saveexec_b64 s[2:3], s[4:5]
	s_cbranch_execz .LBB0_385
.LBB0_472:
	.loc	1 68 56                         ; persistent_matmul.py:68:56
	v_lshl_add_u64 v[0:1], v[12:13], 1, v[30:31]
	.loc	1 74 25                         ; persistent_matmul.py:74:25
	global_store_short_d16_hi v[0:1], v40, off
	s_or_b64 exec, exec, s[2:3]
	.loc	1 69 43                         ; persistent_matmul.py:69:43
	s_and_b64 s[4:5], s[0:1], s[18:19]
	.loc	1 74 25                         ; persistent_matmul.py:74:25
	s_and_saveexec_b64 s[2:3], s[4:5]
	s_cbranch_execz .LBB0_386
.LBB0_473:
	.loc	1 68 56                         ; persistent_matmul.py:68:56
	v_lshl_add_u64 v[0:1], v[14:15], 1, v[30:31]
	.loc	1 74 25                         ; persistent_matmul.py:74:25
	global_store_short v[0:1], v39, off
	s_or_b64 exec, exec, s[2:3]
	.loc	1 69 43                         ; persistent_matmul.py:69:43
	s_and_b64 s[4:5], s[0:1], s[20:21]
	.loc	1 74 25                         ; persistent_matmul.py:74:25
	s_and_saveexec_b64 s[2:3], s[4:5]
	s_cbranch_execz .LBB0_387
.LBB0_474:
	.loc	1 68 56                         ; persistent_matmul.py:68:56
	v_lshl_add_u64 v[0:1], v[16:17], 1, v[30:31]
	.loc	1 74 25                         ; persistent_matmul.py:74:25
	global_store_short_d16_hi v[0:1], v39, off
	s_or_b64 exec, exec, s[2:3]
	.loc	1 69 43                         ; persistent_matmul.py:69:43
	s_and_b64 s[4:5], s[0:1], s[22:23]
	.loc	1 74 25                         ; persistent_matmul.py:74:25
	s_and_saveexec_b64 s[2:3], s[4:5]
	s_cbranch_execz .LBB0_388
.LBB0_475:
	.loc	1 68 56                         ; persistent_matmul.py:68:56
	v_lshl_add_u64 v[0:1], v[18:19], 1, v[30:31]
	.loc	1 74 25                         ; persistent_matmul.py:74:25
	global_store_short v[0:1], v38, off
	s_or_b64 exec, exec, s[2:3]
	.loc	1 69 43                         ; persistent_matmul.py:69:43
	s_and_b64 s[4:5], s[0:1], s[24:25]
	.loc	1 74 25                         ; persistent_matmul.py:74:25
	s_and_saveexec_b64 s[2:3], s[4:5]
	s_cbranch_execz .LBB0_389
.LBB0_476:
	.loc	1 68 56                         ; persistent_matmul.py:68:56
	v_lshl_add_u64 v[0:1], v[20:21], 1, v[30:31]
	.loc	1 74 25                         ; persistent_matmul.py:74:25
	global_store_short_d16_hi v[0:1], v38, off
	s_or_b64 exec, exec, s[2:3]
	.loc	1 69 43                         ; persistent_matmul.py:69:43
	s_and_b64 s[4:5], s[0:1], s[26:27]
	.loc	1 74 25                         ; persistent_matmul.py:74:25
	s_and_saveexec_b64 s[2:3], s[4:5]
	s_cbranch_execz .LBB0_390
.LBB0_477:
	.loc	1 68 56                         ; persistent_matmul.py:68:56
	v_lshl_add_u64 v[0:1], v[22:23], 1, v[30:31]
	.loc	1 74 25                         ; persistent_matmul.py:74:25
	global_store_short v[0:1], v37, off
	s_or_b64 exec, exec, s[2:3]
	.loc	1 69 43                         ; persistent_matmul.py:69:43
	s_and_b64 s[4:5], s[0:1], s[28:29]
	.loc	1 74 25                         ; persistent_matmul.py:74:25
	s_and_saveexec_b64 s[2:3], s[4:5]
	s_cbranch_execz .LBB0_391
.LBB0_478:
	.loc	1 68 56                         ; persistent_matmul.py:68:56
	v_lshl_add_u64 v[0:1], v[24:25], 1, v[30:31]
	.loc	1 74 25                         ; persistent_matmul.py:74:25
	global_store_short_d16_hi v[0:1], v37, off
	s_or_b64 exec, exec, s[2:3]
	.loc	1 69 43                         ; persistent_matmul.py:69:43
	s_and_b64 s[4:5], s[0:1], s[30:31]
	.loc	1 74 25                         ; persistent_matmul.py:74:25
	s_and_saveexec_b64 s[2:3], s[4:5]
	s_cbranch_execz .LBB0_392
.LBB0_479:
	.loc	1 68 56                         ; persistent_matmul.py:68:56
	v_lshl_add_u64 v[0:1], v[26:27], 1, v[30:31]
	.loc	1 74 25                         ; persistent_matmul.py:74:25
	global_store_short v[0:1], v36, off
	s_or_b64 exec, exec, s[2:3]
	.loc	1 69 43                         ; persistent_matmul.py:69:43
	s_and_b64 s[2:3], s[0:1], s[34:35]
	.loc	1 74 25                         ; persistent_matmul.py:74:25
	s_and_saveexec_b64 s[0:1], s[2:3]
	s_cbranch_execnz .LBB0_393
	s_branch .LBB0_394
.LBB0_480:
	.loc	1 68 56                         ; persistent_matmul.py:68:56
	v_lshl_add_u64 v[32:33], v[32:33], 1, v[34:35]
	.loc	1 74 25                         ; persistent_matmul.py:74:25
	global_store_short v[32:33], v140, off
	s_or_b64 exec, exec, s[56:57]
	.loc	1 69 43                         ; persistent_matmul.py:69:43
	s_and_b64 s[56:57], s[46:47], s[50:51]
	.loc	1 74 25                         ; persistent_matmul.py:74:25
	s_and_saveexec_b64 s[50:51], s[56:57]
	s_cbranch_execz .LBB0_188
.LBB0_481:
	.loc	1 68 56                         ; persistent_matmul.py:68:56
	v_lshl_add_u64 v[32:33], v[36:37], 1, v[34:35]
	.loc	1 74 25                         ; persistent_matmul.py:74:25
	global_store_short_d16_hi v[32:33], v140, off
	s_or_b64 exec, exec, s[50:51]
	.loc	1 69 43                         ; persistent_matmul.py:69:43
	s_and_b64 s[50:51], s[46:47], s[48:49]
	.loc	1 74 25                         ; persistent_matmul.py:74:25
	s_and_saveexec_b64 s[48:49], s[50:51]
	s_cbranch_execz .LBB0_189
.LBB0_482:
	.loc	1 68 56                         ; persistent_matmul.py:68:56
	v_lshl_add_u64 v[32:33], v[38:39], 1, v[34:35]
	.loc	1 74 25                         ; persistent_matmul.py:74:25
	global_store_short v[32:33], v139, off
	s_or_b64 exec, exec, s[48:49]
	.loc	1 69 43                         ; persistent_matmul.py:69:43
	s_and_b64 s[48:49], s[46:47], s[44:45]
	.loc	1 74 25                         ; persistent_matmul.py:74:25
	s_and_saveexec_b64 s[44:45], s[48:49]
	s_cbranch_execz .LBB0_190
.LBB0_483:
	.loc	1 68 56                         ; persistent_matmul.py:68:56
	v_lshl_add_u64 v[32:33], v[40:41], 1, v[34:35]
	.loc	1 74 25                         ; persistent_matmul.py:74:25
	global_store_short_d16_hi v[32:33], v139, off
	s_or_b64 exec, exec, s[44:45]
	.loc	1 69 43                         ; persistent_matmul.py:69:43
	s_and_b64 s[44:45], s[46:47], s[42:43]
	.loc	1 74 25                         ; persistent_matmul.py:74:25
	s_and_saveexec_b64 s[42:43], s[44:45]
	s_cbranch_execz .LBB0_191
.LBB0_484:
	.loc	1 68 56                         ; persistent_matmul.py:68:56
	v_lshl_add_u64 v[32:33], v[42:43], 1, v[34:35]
	.loc	1 74 25                         ; persistent_matmul.py:74:25
	global_store_short v[32:33], v138, off
	s_or_b64 exec, exec, s[42:43]
	.loc	1 69 43                         ; persistent_matmul.py:69:43
	s_and_b64 s[42:43], s[46:47], s[18:19]
	.loc	1 74 25                         ; persistent_matmul.py:74:25
	s_and_saveexec_b64 s[18:19], s[42:43]
	s_cbranch_execz .LBB0_192
.LBB0_485:
	.loc	1 68 56                         ; persistent_matmul.py:68:56
	v_lshl_add_u64 v[32:33], v[44:45], 1, v[34:35]
	.loc	1 74 25                         ; persistent_matmul.py:74:25
	global_store_short_d16_hi v[32:33], v138, off
	s_or_b64 exec, exec, s[18:19]
	.loc	1 69 43                         ; persistent_matmul.py:69:43
	s_and_b64 s[20:21], s[46:47], s[20:21]
	.loc	1 74 25                         ; persistent_matmul.py:74:25
	s_and_saveexec_b64 s[18:19], s[20:21]
	s_cbranch_execz .LBB0_193
.LBB0_486:
	.loc	1 68 56                         ; persistent_matmul.py:68:56
	v_lshl_add_u64 v[32:33], v[46:47], 1, v[34:35]
	.loc	1 74 25                         ; persistent_matmul.py:74:25
	global_store_short v[32:33], v137, off
	s_or_b64 exec, exec, s[18:19]
	.loc	1 69 43                         ; persistent_matmul.py:69:43
	s_and_b64 s[20:21], s[46:47], s[22:23]
	.loc	1 74 25                         ; persistent_matmul.py:74:25
	s_and_saveexec_b64 s[18:19], s[20:21]
	s_cbranch_execz .LBB0_194
.LBB0_487:
	.loc	1 68 56                         ; persistent_matmul.py:68:56
	v_lshl_add_u64 v[32:33], v[48:49], 1, v[34:35]
	.loc	1 74 25                         ; persistent_matmul.py:74:25
	global_store_short_d16_hi v[32:33], v137, off
	s_or_b64 exec, exec, s[18:19]
	.loc	1 69 43                         ; persistent_matmul.py:69:43
	s_and_b64 s[20:21], s[46:47], s[24:25]
	.loc	1 74 25                         ; persistent_matmul.py:74:25
	s_and_saveexec_b64 s[18:19], s[20:21]
	s_cbranch_execz .LBB0_195
.LBB0_488:
	.loc	1 68 56                         ; persistent_matmul.py:68:56
	v_lshl_add_u64 v[32:33], v[50:51], 1, v[34:35]
	.loc	1 74 25                         ; persistent_matmul.py:74:25
	global_store_short v[32:33], v136, off
	s_or_b64 exec, exec, s[18:19]
	.loc	1 69 43                         ; persistent_matmul.py:69:43
	s_and_b64 s[20:21], s[46:47], s[26:27]
	.loc	1 74 25                         ; persistent_matmul.py:74:25
	s_and_saveexec_b64 s[18:19], s[20:21]
	s_cbranch_execz .LBB0_196
.LBB0_489:
	.loc	1 68 56                         ; persistent_matmul.py:68:56
	v_lshl_add_u64 v[32:33], v[52:53], 1, v[34:35]
	.loc	1 74 25                         ; persistent_matmul.py:74:25
	global_store_short_d16_hi v[32:33], v136, off
	s_or_b64 exec, exec, s[18:19]
	.loc	1 69 43                         ; persistent_matmul.py:69:43
	s_and_b64 s[20:21], s[46:47], s[28:29]
	.loc	1 74 25                         ; persistent_matmul.py:74:25
	s_and_saveexec_b64 s[18:19], s[20:21]
	s_cbranch_execz .LBB0_197
.LBB0_490:
	.loc	1 68 56                         ; persistent_matmul.py:68:56
	v_lshl_add_u64 v[32:33], v[54:55], 1, v[34:35]
	.loc	1 74 25                         ; persistent_matmul.py:74:25
	global_store_short v[32:33], v135, off
	s_or_b64 exec, exec, s[18:19]
	.loc	1 69 43                         ; persistent_matmul.py:69:43
	s_and_b64 s[20:21], s[46:47], s[30:31]
	.loc	1 74 25                         ; persistent_matmul.py:74:25
	s_and_saveexec_b64 s[18:19], s[20:21]
	s_cbranch_execz .LBB0_198
.LBB0_491:
	.loc	1 68 56                         ; persistent_matmul.py:68:56
	v_lshl_add_u64 v[32:33], v[56:57], 1, v[34:35]
	.loc	1 74 25                         ; persistent_matmul.py:74:25
	global_store_short_d16_hi v[32:33], v135, off
	s_or_b64 exec, exec, s[18:19]
	.loc	1 69 43                         ; persistent_matmul.py:69:43
	s_and_b64 s[20:21], s[46:47], s[34:35]
	.loc	1 74 25                         ; persistent_matmul.py:74:25
	s_and_saveexec_b64 s[18:19], s[20:21]
	s_cbranch_execz .LBB0_199
.LBB0_492:
	.loc	1 68 56                         ; persistent_matmul.py:68:56
	v_lshl_add_u64 v[32:33], v[58:59], 1, v[34:35]
	.loc	1 74 25                         ; persistent_matmul.py:74:25
	global_store_short v[32:33], v134, off
	s_or_b64 exec, exec, s[18:19]
	.loc	1 69 43                         ; persistent_matmul.py:69:43
	s_and_b64 s[20:21], s[46:47], s[36:37]
	.loc	1 74 25                         ; persistent_matmul.py:74:25
	s_and_saveexec_b64 s[18:19], s[20:21]
	s_cbranch_execz .LBB0_200
.LBB0_493:
	.loc	1 68 56                         ; persistent_matmul.py:68:56
	v_lshl_add_u64 v[32:33], v[60:61], 1, v[34:35]
	.loc	1 74 25                         ; persistent_matmul.py:74:25
	global_store_short_d16_hi v[32:33], v134, off
	s_or_b64 exec, exec, s[18:19]
	.loc	1 69 43                         ; persistent_matmul.py:69:43
	s_and_b64 s[20:21], s[46:47], s[38:39]
	.loc	1 74 25                         ; persistent_matmul.py:74:25
	s_and_saveexec_b64 s[18:19], s[20:21]
	s_cbranch_execz .LBB0_201
.LBB0_494:
	.loc	1 68 56                         ; persistent_matmul.py:68:56
	v_lshl_add_u64 v[32:33], v[62:63], 1, v[34:35]
	.loc	1 74 25                         ; persistent_matmul.py:74:25
	global_store_short v[32:33], v133, off
	s_or_b64 exec, exec, s[18:19]
	.loc	1 69 43                         ; persistent_matmul.py:69:43
	s_and_b64 s[20:21], s[46:47], s[40:41]
	.loc	1 74 25                         ; persistent_matmul.py:74:25
	s_and_saveexec_b64 s[18:19], s[20:21]
	s_cbranch_execnz .LBB0_202
	s_branch .LBB0_203
.Ltmp64:
	.section	.rodata,"a",@progbits
	.p2align	6, 0x0
	.amdhsa_kernel matmul_kernel_persistent
		.amdhsa_group_segment_fixed_size 0
		.amdhsa_private_segment_fixed_size 0
		.amdhsa_kernarg_size 80
		.amdhsa_user_sgpr_count 16
		.amdhsa_user_sgpr_dispatch_ptr 0
		.amdhsa_user_sgpr_queue_ptr 0
		.amdhsa_user_sgpr_kernarg_segment_ptr 1
		.amdhsa_user_sgpr_dispatch_id 0
		.amdhsa_user_sgpr_kernarg_preload_length 14
		.amdhsa_user_sgpr_kernarg_preload_offset 0
		.amdhsa_user_sgpr_private_segment_size 0
		.amdhsa_uses_dynamic_stack 0
		.amdhsa_enable_private_segment 0
		.amdhsa_system_sgpr_workgroup_id_x 1
		.amdhsa_system_sgpr_workgroup_id_y 0
		.amdhsa_system_sgpr_workgroup_id_z 0
		.amdhsa_system_sgpr_workgroup_info 0
		.amdhsa_system_vgpr_workitem_id 0
		.amdhsa_next_free_vgpr 151
		.amdhsa_next_free_sgpr 100
		.amdhsa_accum_offset 152
		.amdhsa_reserve_vcc 1
		.amdhsa_reserve_xnack_mask 1
		.amdhsa_float_round_mode_32 0
		.amdhsa_float_round_mode_16_64 0
		.amdhsa_float_denorm_mode_32 3
		.amdhsa_float_denorm_mode_16_64 3
		.amdhsa_dx10_clamp 1
		.amdhsa_ieee_mode 1
		.amdhsa_fp16_overflow 0
		.amdhsa_tg_split 0
		.amdhsa_exception_fp_ieee_invalid_op 0
		.amdhsa_exception_fp_denorm_src 0
		.amdhsa_exception_fp_ieee_div_zero 0
		.amdhsa_exception_fp_ieee_overflow 0
		.amdhsa_exception_fp_ieee_underflow 0
		.amdhsa_exception_fp_ieee_inexact 0
		.amdhsa_exception_int_div_zero 0
	.end_amdhsa_kernel
	.text
.Lfunc_end0:
	.size	matmul_kernel_persistent, .Lfunc_end0-matmul_kernel_persistent
	.cfi_endproc
                                        ; -- End function
	.set matmul_kernel_persistent.num_vgpr, 151
	.set matmul_kernel_persistent.num_agpr, 0
	.set matmul_kernel_persistent.numbered_sgpr, 100
	.set matmul_kernel_persistent.num_named_barrier, 0
	.set matmul_kernel_persistent.private_seg_size, 0
	.set matmul_kernel_persistent.uses_vcc, 1
	.set matmul_kernel_persistent.uses_flat_scratch, 0
	.set matmul_kernel_persistent.has_dyn_sized_stack, 0
	.set matmul_kernel_persistent.has_recursion, 0
	.set matmul_kernel_persistent.has_indirect_call, 0
	.section	.AMDGPU.csdata,"",@progbits
; Kernel info:
; codeLenInByte = 18348
; TotalNumSgprs: 106
; NumVgprs: 151
; NumAgprs: 0
; TotalNumVgprs: 151
; ScratchSize: 0
; MemoryBound: 0
; FloatMode: 240
; IeeeMode: 1
; LDSByteSize: 0 bytes/workgroup (compile time only)
; SGPRBlocks: 13
; VGPRBlocks: 18
; NumSGPRsForWavesPerEU: 106
; NumVGPRsForWavesPerEU: 151
; AccumOffset: 152
; Occupancy: 3
; WaveLimiterHint : 0
; COMPUTE_PGM_RSRC2:SCRATCH_EN: 0
; COMPUTE_PGM_RSRC2:USER_SGPR: 16
; COMPUTE_PGM_RSRC2:TRAP_HANDLER: 0
; COMPUTE_PGM_RSRC2:TGID_X_EN: 1
; COMPUTE_PGM_RSRC2:TGID_Y_EN: 0
; COMPUTE_PGM_RSRC2:TGID_Z_EN: 0
; COMPUTE_PGM_RSRC2:TIDIG_COMP_CNT: 0
; COMPUTE_PGM_RSRC3_GFX90A:ACCUM_OFFSET: 37
; COMPUTE_PGM_RSRC3_GFX90A:TG_SPLIT: 0
	.text
	.p2alignl 6, 3212836864
	.fill 256, 4, 3212836864
	.section	.AMDGPU.gpr_maximums,"",@progbits
	.set amdgpu.max_num_vgpr, 0
	.set amdgpu.max_num_agpr, 0
	.set amdgpu.max_num_sgpr, 0
	.set amdgpu.max_num_named_barrier, 0
	.text
	.section	.debug_abbrev,"",@progbits
	.byte	1                               ; Abbreviation Code
	.byte	17                              ; DW_TAG_compile_unit
	.byte	1                               ; DW_CHILDREN_yes
	.byte	37                              ; DW_AT_producer
	.byte	14                              ; DW_FORM_strp
	.byte	19                              ; DW_AT_language
	.byte	5                               ; DW_FORM_data2
	.byte	3                               ; DW_AT_name
	.byte	14                              ; DW_FORM_strp
	.byte	16                              ; DW_AT_stmt_list
	.byte	23                              ; DW_FORM_sec_offset
	.byte	27                              ; DW_AT_comp_dir
	.byte	14                              ; DW_FORM_strp
	.byte	17                              ; DW_AT_low_pc
	.byte	1                               ; DW_FORM_addr
	.byte	18                              ; DW_AT_high_pc
	.byte	6                               ; DW_FORM_data4
	.byte	0                               ; EOM(1)
	.byte	0                               ; EOM(2)
	.byte	2                               ; Abbreviation Code
	.byte	46                              ; DW_TAG_subprogram
	.byte	0                               ; DW_CHILDREN_no
	.byte	3                               ; DW_AT_name
	.byte	14                              ; DW_FORM_strp
	.byte	32                              ; DW_AT_inline
	.byte	11                              ; DW_FORM_data1
	.byte	0                               ; EOM(1)
	.byte	0                               ; EOM(2)
	.byte	3                               ; Abbreviation Code
	.byte	46                              ; DW_TAG_subprogram
	.byte	1                               ; DW_CHILDREN_yes
	.byte	17                              ; DW_AT_low_pc
	.byte	1                               ; DW_FORM_addr
	.byte	18                              ; DW_AT_high_pc
	.byte	6                               ; DW_FORM_data4
	.byte	49                              ; DW_AT_abstract_origin
	.byte	19                              ; DW_FORM_ref4
	.byte	0                               ; EOM(1)
	.byte	0                               ; EOM(2)
	.byte	4                               ; Abbreviation Code
	.byte	29                              ; DW_TAG_inlined_subroutine
	.byte	0                               ; DW_CHILDREN_no
	.byte	49                              ; DW_AT_abstract_origin
	.byte	19                              ; DW_FORM_ref4
	.byte	17                              ; DW_AT_low_pc
	.byte	1                               ; DW_FORM_addr
	.byte	18                              ; DW_AT_high_pc
	.byte	6                               ; DW_FORM_data4
	.byte	88                              ; DW_AT_call_file
	.byte	11                              ; DW_FORM_data1
	.byte	89                              ; DW_AT_call_line
	.byte	11                              ; DW_FORM_data1
	.byte	87                              ; DW_AT_call_column
	.byte	11                              ; DW_FORM_data1
	.byte	0                               ; EOM(1)
	.byte	0                               ; EOM(2)
	.byte	5                               ; Abbreviation Code
	.byte	29                              ; DW_TAG_inlined_subroutine
	.byte	0                               ; DW_CHILDREN_no
	.byte	49                              ; DW_AT_abstract_origin
	.byte	19                              ; DW_FORM_ref4
	.byte	85                              ; DW_AT_ranges
	.byte	23                              ; DW_FORM_sec_offset
	.byte	88                              ; DW_AT_call_file
	.byte	11                              ; DW_FORM_data1
	.byte	89                              ; DW_AT_call_line
	.byte	11                              ; DW_FORM_data1
	.byte	87                              ; DW_AT_call_column
	.byte	11                              ; DW_FORM_data1
	.byte	0                               ; EOM(1)
	.byte	0                               ; EOM(2)
	;; [unrolled: 1-line block ×3, first 2 shown]
	.section	.debug_info,"",@progbits
.Lcu_begin0:
	.long	.Ldebug_info_end0-.Ldebug_info_start0 ; Length of Unit
.Ldebug_info_start0:
	.short	4                               ; DWARF version number
	.long	.debug_abbrev                   ; Offset Into Abbrev. Section
	.byte	8                               ; Address Size (in bytes)
	.byte	1                               ; Abbrev [1] 0xb:0x7c DW_TAG_compile_unit
	.long	.Linfo_string0                  ; DW_AT_producer
	.short	2                               ; DW_AT_language
	.long	.Linfo_string1                  ; DW_AT_name
	.long	.Lline_table_start0             ; DW_AT_stmt_list
	.long	.Linfo_string2                  ; DW_AT_comp_dir
	.quad	.Lfunc_begin0                   ; DW_AT_low_pc
	.long	.Lfunc_end0-.Lfunc_begin0       ; DW_AT_high_pc
	.byte	2                               ; Abbrev [2] 0x2a:0x6 DW_TAG_subprogram
	.long	.Linfo_string3                  ; DW_AT_name
	.byte	1                               ; DW_AT_inline
	.byte	3                               ; Abbrev [3] 0x30:0x56 DW_TAG_subprogram
	.quad	.Lfunc_begin0                   ; DW_AT_low_pc
	.long	.Lfunc_end0-.Lfunc_begin0       ; DW_AT_high_pc
	.long	42                              ; DW_AT_abstract_origin
	.byte	4                               ; Abbrev [4] 0x41:0x14 DW_TAG_inlined_subroutine
	.long	42                              ; DW_AT_abstract_origin
	.quad	.Ltmp1                          ; DW_AT_low_pc
	.long	.Ltmp2-.Ltmp1                   ; DW_AT_high_pc
	.byte	1                               ; DW_AT_call_file
	.byte	31                              ; DW_AT_call_line
	.byte	27                              ; DW_AT_call_column
	.byte	5                               ; Abbrev [5] 0x55:0xc DW_TAG_inlined_subroutine
	.long	42                              ; DW_AT_abstract_origin
	.long	.Ldebug_ranges0                 ; DW_AT_ranges
	.byte	1                               ; DW_AT_call_file
	.byte	32                              ; DW_AT_call_line
	.byte	27                              ; DW_AT_call_column
	.byte	5                               ; Abbrev [5] 0x61:0xc DW_TAG_inlined_subroutine
	.long	42                              ; DW_AT_abstract_origin
	.long	.Ldebug_ranges1                 ; DW_AT_ranges
	;; [unrolled: 6-line block ×4, first 2 shown]
	.byte	1                               ; DW_AT_call_file
	.byte	65                              ; DW_AT_call_line
	.byte	90                              ; DW_AT_call_column
	.byte	0                               ; End Of Children Mark
	.byte	0                               ; End Of Children Mark
.Ldebug_info_end0:
	.section	.debug_ranges,"",@progbits
.Ldebug_ranges0:
	.quad	.Ltmp2-.Lfunc_begin0
	.quad	.Ltmp3-.Lfunc_begin0
	;; [unrolled: 1-line block ×4, first 2 shown]
	.quad	0
	.quad	0
.Ldebug_ranges1:
	.quad	.Ltmp6-.Lfunc_begin0
	.quad	.Ltmp7-.Lfunc_begin0
	.quad	.Ltmp8-.Lfunc_begin0
	.quad	.Ltmp9-.Lfunc_begin0
	.quad	0
	.quad	0
.Ldebug_ranges2:
	.quad	.Ltmp10-.Lfunc_begin0
	.quad	.Ltmp11-.Lfunc_begin0
	;; [unrolled: 1-line block ×28, first 2 shown]
	.quad	0
	.quad	0
.Ldebug_ranges3:
	.quad	.Ltmp38-.Lfunc_begin0
	.quad	.Ltmp39-.Lfunc_begin0
	;; [unrolled: 1-line block ×26, first 2 shown]
	.quad	0
	.quad	0
	.section	.debug_str,"MS",@progbits,1
.Linfo_string0:
	.asciz	"triton"                        ; string offset=0
.Linfo_string1:
	.asciz	"persistent_matmul.py"          ; string offset=7
.Linfo_string2:
	.asciz	"/root/src/amdgpu-assembly/repos/triton-lang__triton-aot" ; string offset=28
.Linfo_string3:
	.asciz	"matmul_kernel_persistent"      ; string offset=84
	.section	".note.GNU-stack","",@progbits
	.amdgpu_metadata
---
amdhsa.kernels:
  - .agpr_count:     0
    .args:
      - .address_space:  global
        .offset:         0
        .size:           8
        .value_kind:     global_buffer
      - .address_space:  global
        .offset:         8
        .size:           8
        .value_kind:     global_buffer
      - .address_space:  global
        .offset:         16
        .size:           8
        .value_kind:     global_buffer
      - .offset:         24
        .size:           4
        .value_kind:     by_value
      - .offset:         28
        .size:           4
        .value_kind:     by_value
      - .offset:         32
        .size:           4
        .value_kind:     by_value
      - .offset:         36
        .size:           4
        .value_kind:     by_value
      - .offset:         40
        .size:           4
        .value_kind:     by_value
      - .offset:         44
        .size:           4
        .value_kind:     by_value
      - .offset:         48
        .size:           4
        .value_kind:     by_value
      - .offset:         52
        .size:           4
        .value_kind:     by_value
      - .offset:         56
        .size:           4
        .value_kind:     by_value
      - .address_space:  global
        .offset:         64
        .size:           8
        .value_kind:     global_buffer
      - .address_space:  global
        .offset:         72
        .size:           8
        .value_kind:     global_buffer
    .group_segment_fixed_size: 0
    .kernarg_segment_align: 8
    .kernarg_segment_size: 80
    .max_flat_workgroup_size: 512
    .name:           matmul_kernel_persistent
    .private_segment_fixed_size: 0
    .sgpr_count:     106
    .sgpr_spill_count: 21
    .symbol:         matmul_kernel_persistent.kd
    .uniform_work_group_size: 1
    .uses_dynamic_stack: false
    .vgpr_count:     151
    .vgpr_spill_count: 0
    .wavefront_size: 64
amdhsa.target:   amdgcn-amd-amdhsa--gfx950
amdhsa.version:
  - 1
  - 2
...

	.end_amdgpu_metadata
	.section	.debug_line,"",@progbits
.Lline_table_start0:
